;; amdgpu-corpus repo=ROCm/rocFFT kind=compiled arch=gfx90a opt=O3
	.text
	.amdgcn_target "amdgcn-amd-amdhsa--gfx90a"
	.amdhsa_code_object_version 6
	.protected	bluestein_single_back_len2880_dim1_dp_op_CI_CI ; -- Begin function bluestein_single_back_len2880_dim1_dp_op_CI_CI
	.globl	bluestein_single_back_len2880_dim1_dp_op_CI_CI
	.p2align	8
	.type	bluestein_single_back_len2880_dim1_dp_op_CI_CI,@function
bluestein_single_back_len2880_dim1_dp_op_CI_CI: ; @bluestein_single_back_len2880_dim1_dp_op_CI_CI
; %bb.0:
	s_load_dwordx4 s[12:15], s[4:5], 0x28
	s_mov_b64 s[46:47], s[2:3]
	s_mov_b64 s[44:45], s[0:1]
	v_mul_u32_u24_e32 v1, 0x2ab, v0
	s_add_u32 s44, s44, s7
	v_add_u32_sdwa v2, s6, v1 dst_sel:DWORD dst_unused:UNUSED_PAD src0_sel:DWORD src1_sel:WORD_1
	v_mov_b32_e32 v3, 0
	s_addc_u32 s45, s45, 0
	s_waitcnt lgkmcnt(0)
	v_cmp_gt_u64_e32 vcc, s[12:13], v[2:3]
	s_and_saveexec_b64 s[0:1], vcc
	s_cbranch_execz .LBB0_2
; %bb.1:
	s_load_dwordx4 s[8:11], s[4:5], 0x0
	s_load_dwordx4 s[20:23], s[4:5], 0x18
	s_load_dwordx2 s[12:13], s[4:5], 0x38
	s_movk_i32 s18, 0x60
	v_mul_lo_u16_sdwa v1, v1, s18 dst_sel:DWORD dst_unused:UNUSED_PAD src0_sel:WORD_1 src1_sel:DWORD
	v_sub_u16_e32 v188, v0, v1
	s_waitcnt lgkmcnt(0)
	s_load_dwordx4 s[0:3], s[22:23], 0x0
	v_lshlrev_b32_e32 v242, 4, v188
	s_movk_i32 s28, 0x1000
	s_movk_i32 s29, 0x2000
	v_mov_b32_e32 v28, 0x1200
	s_waitcnt lgkmcnt(0)
	v_mad_u64_u32 v[4:5], s[4:5], s2, v2, 0
	v_mov_b32_e32 v0, v5
	v_mad_u64_u32 v[0:1], s[2:3], s3, v2, v[0:1]
	v_mov_b32_e32 v5, v0
	buffer_store_dword v4, off, s[44:47], 0 offset:508 ; 4-byte Folded Spill
	s_nop 0
	buffer_store_dword v5, off, s[44:47], 0 offset:512 ; 4-byte Folded Spill
	global_load_dwordx4 v[10:13], v242, s[8:9]
	s_load_dwordx4 s[4:7], s[20:21], 0x0
	s_movk_i32 s30, 0x3000
	s_movk_i32 s31, 0x5000
	;; [unrolled: 1-line block ×4, first 2 shown]
	s_waitcnt lgkmcnt(0)
	v_mad_u64_u32 v[0:1], s[2:3], s6, v2, 0
	v_mov_b32_e32 v4, v1
	v_mov_b32_e32 v29, 0x2400
	s_mov_b32 s38, 0xa000
	s_add_u32 s16, s8, 0xb400
	s_addc_u32 s17, s9, 0
	s_movk_i32 s33, 0x4000
	s_mov_b32 s35, 0x8000
	s_mov_b32 s36, 0x9000
	;; [unrolled: 1-line block ×7, first 2 shown]
	s_movk_i32 s20, 0xcd
	s_movk_i32 s39, 0x50
	v_mov_b32_e32 v177, s11
	s_mov_b32 s21, 0xbfebb67a
	v_add_u32_e32 v168, 0x360, v188
	v_add_u32_e32 v171, 0x3c0, v188
	;; [unrolled: 1-line block ×4, first 2 shown]
	v_mad_u64_u32 v[2:3], s[2:3], s7, v2, v[4:5]
	v_mov_b32_e32 v1, v2
	v_mad_u64_u32 v[2:3], s[2:3], s4, v188, 0
	v_mov_b32_e32 v4, v3
	v_mad_u64_u32 v[4:5], s[2:3], s5, v188, v[4:5]
	v_lshlrev_b64 v[0:1], 4, v[0:1]
	v_mov_b32_e32 v3, v4
	v_add_co_u32_e32 v20, vcc, s14, v0
	v_mov_b32_e32 v0, s15
	v_addc_co_u32_e32 v21, vcc, v0, v1, vcc
	v_lshlrev_b64 v[0:1], 4, v[2:3]
	v_add_co_u32_e32 v8, vcc, v20, v0
	v_addc_co_u32_e32 v9, vcc, v21, v1, vcc
	global_load_dwordx4 v[0:3], v[8:9], off
	s_waitcnt vmcnt(1)
	buffer_store_dword v10, off, s[44:47], 0 offset:16 ; 4-byte Folded Spill
	s_nop 0
	buffer_store_dword v11, off, s[44:47], 0 offset:20 ; 4-byte Folded Spill
	buffer_store_dword v12, off, s[44:47], 0 offset:24 ; 4-byte Folded Spill
	;; [unrolled: 1-line block ×3, first 2 shown]
	v_add_co_u32_e32 v18, vcc, s8, v242
	v_mov_b32_e32 v4, s9
	v_addc_co_u32_e32 v19, vcc, 0, v4, vcc
	s_movk_i32 s2, 0x120
	v_add_co_u32_e32 v169, vcc, s2, v188
	v_addc_co_u32_e64 v170, s[2:3], 0, 0, vcc
	s_mov_b32 s15, 0xbfe2cf23
	s_waitcnt vmcnt(4)
	v_mul_f64 v[4:5], v[2:3], v[12:13]
	v_fmac_f64_e32 v[4:5], v[0:1], v[10:11]
	v_mul_f64 v[0:1], v[0:1], v[12:13]
	v_fma_f64 v[6:7], v[2:3], v[10:11], -v[0:1]
	ds_write_b128 v242, v[4:7]
	v_add_co_u32_e32 v6, vcc, s28, v18
	v_addc_co_u32_e32 v7, vcc, 0, v19, vcc
	global_load_dwordx4 v[10:13], v[6:7], off offset:512
	v_mov_b32_e32 v0, 0x1200
	v_mad_u64_u32 v[4:5], s[2:3], s4, v0, v[8:9]
	s_mul_i32 s2, s5, 0x1200
	v_add_u32_e32 v5, s2, v5
	global_load_dwordx4 v[0:3], v[4:5], off
	s_mul_i32 s3, s5, 0x2400
	s_waitcnt vmcnt(1)
	buffer_store_dword v10, off, s[44:47], 0 offset:48 ; 4-byte Folded Spill
	s_nop 0
	buffer_store_dword v11, off, s[44:47], 0 offset:52 ; 4-byte Folded Spill
	buffer_store_dword v12, off, s[44:47], 0 offset:56 ; 4-byte Folded Spill
	;; [unrolled: 1-line block ×3, first 2 shown]
	s_waitcnt vmcnt(4)
	v_mul_f64 v[8:9], v[2:3], v[12:13]
	v_fmac_f64_e32 v[8:9], v[0:1], v[10:11]
	v_mul_f64 v[0:1], v[0:1], v[12:13]
	v_fma_f64 v[10:11], v[2:3], v[10:11], -v[0:1]
	v_add_co_u32_e32 v0, vcc, s29, v18
	v_addc_co_u32_e32 v1, vcc, 0, v19, vcc
	global_load_dwordx4 v[14:17], v[0:1], off offset:1024
	v_mad_u64_u32 v[12:13], s[6:7], s4, v28, v[4:5]
	v_add_u32_e32 v13, s2, v13
	global_load_dwordx4 v[2:5], v[12:13], off
	ds_write_b128 v242, v[8:11] offset:4608
                                        ; kill: killed $vgpr0 killed $vgpr1
	s_waitcnt vmcnt(1)
	buffer_store_dword v14, off, s[44:47], 0 offset:80 ; 4-byte Folded Spill
	s_nop 0
	buffer_store_dword v15, off, s[44:47], 0 offset:84 ; 4-byte Folded Spill
	buffer_store_dword v16, off, s[44:47], 0 offset:88 ; 4-byte Folded Spill
	;; [unrolled: 1-line block ×3, first 2 shown]
	s_waitcnt vmcnt(4)
	v_mul_f64 v[8:9], v[4:5], v[16:17]
	v_fmac_f64_e32 v[8:9], v[2:3], v[14:15]
	v_mul_f64 v[2:3], v[2:3], v[16:17]
	v_fma_f64 v[10:11], v[4:5], v[14:15], -v[2:3]
	v_add_co_u32_e32 v2, vcc, s30, v18
	v_addc_co_u32_e32 v3, vcc, 0, v19, vcc
	global_load_dwordx4 v[14:17], v[2:3], off offset:1536
	v_mad_u64_u32 v[4:5], s[6:7], s4, v28, v[12:13]
	v_add_u32_e32 v5, s2, v5
	ds_write_b128 v242, v[8:11] offset:9216
	global_load_dwordx4 v[8:11], v[4:5], off
                                        ; kill: killed $vgpr2 killed $vgpr3
	s_waitcnt vmcnt(1)
	buffer_store_dword v14, off, s[44:47], 0 offset:144 ; 4-byte Folded Spill
	s_nop 0
	buffer_store_dword v15, off, s[44:47], 0 offset:148 ; 4-byte Folded Spill
	buffer_store_dword v16, off, s[44:47], 0 offset:152 ; 4-byte Folded Spill
	;; [unrolled: 1-line block ×3, first 2 shown]
	s_waitcnt vmcnt(4)
	v_mul_f64 v[12:13], v[10:11], v[16:17]
	v_fmac_f64_e32 v[12:13], v[8:9], v[14:15]
	v_mul_f64 v[8:9], v[8:9], v[16:17]
	v_fma_f64 v[14:15], v[10:11], v[14:15], -v[8:9]
	ds_write_b128 v242, v[12:15] offset:13824
	v_or_b32_e32 v12, 0x480, v188
	v_mov_b32_e32 v190, v12
	v_lshlrev_b32_e32 v244, 4, v190
	global_load_dwordx4 v[14:17], v244, s[8:9]
	v_mad_u64_u32 v[8:9], s[6:7], s4, v12, 0
	v_mov_b32_e32 v10, v9
	v_mad_u64_u32 v[10:11], s[6:7], s5, v12, v[10:11]
	v_mov_b32_e32 v9, v10
	v_lshlrev_b64 v[8:9], 4, v[8:9]
	v_add_co_u32_e32 v8, vcc, v20, v8
	v_addc_co_u32_e32 v9, vcc, v21, v9, vcc
	global_load_dwordx4 v[8:11], v[8:9], off
	s_waitcnt vmcnt(1)
	buffer_store_dword v14, off, s[44:47], 0 offset:192 ; 4-byte Folded Spill
	s_nop 0
	buffer_store_dword v15, off, s[44:47], 0 offset:196 ; 4-byte Folded Spill
	buffer_store_dword v16, off, s[44:47], 0 offset:200 ; 4-byte Folded Spill
	;; [unrolled: 1-line block ×3, first 2 shown]
	s_waitcnt vmcnt(4)
	v_mul_f64 v[12:13], v[10:11], v[16:17]
	v_fmac_f64_e32 v[12:13], v[8:9], v[14:15]
	v_mul_f64 v[8:9], v[8:9], v[16:17]
	v_fma_f64 v[14:15], v[10:11], v[14:15], -v[8:9]
	v_add_co_u32_e32 v10, vcc, s31, v18
	v_addc_co_u32_e32 v11, vcc, 0, v19, vcc
	global_load_dwordx4 v[24:27], v[10:11], off offset:2560
	v_mov_b32_e32 v8, 0x2400
	v_mad_u64_u32 v[4:5], s[6:7], s4, v8, v[4:5]
	v_add_u32_e32 v5, s3, v5
	ds_write_b128 v242, v[12:15] offset:18432
	global_load_dwordx4 v[12:15], v[4:5], off
	v_mad_u64_u32 v[4:5], s[6:7], s4, v28, v[4:5]
	v_add_u32_e32 v5, s2, v5
	s_waitcnt vmcnt(1)
	buffer_store_dword v24, off, s[44:47], 0 offset:344 ; 4-byte Folded Spill
	s_nop 0
	buffer_store_dword v25, off, s[44:47], 0 offset:348 ; 4-byte Folded Spill
	buffer_store_dword v26, off, s[44:47], 0 offset:352 ; 4-byte Folded Spill
	;; [unrolled: 1-line block ×3, first 2 shown]
	s_waitcnt vmcnt(4)
	v_mul_f64 v[22:23], v[14:15], v[26:27]
	v_mul_f64 v[8:9], v[12:13], v[26:27]
	v_fmac_f64_e32 v[22:23], v[12:13], v[24:25]
	v_fma_f64 v[24:25], v[14:15], v[24:25], -v[8:9]
	v_add_co_u32_e32 v8, vcc, s34, v18
	v_addc_co_u32_e32 v9, vcc, 0, v19, vcc
	ds_write_b128 v242, v[22:25] offset:23040
	global_load_dwordx4 v[24:27], v[8:9], off offset:3072
	global_load_dwordx4 v[12:15], v[4:5], off
	v_mad_u64_u32 v[4:5], s[6:7], s4, v28, v[4:5]
	v_add_u32_e32 v5, s2, v5
	s_waitcnt vmcnt(1)
	buffer_store_dword v24, off, s[44:47], 0 offset:420 ; 4-byte Folded Spill
	s_nop 0
	buffer_store_dword v25, off, s[44:47], 0 offset:424 ; 4-byte Folded Spill
	buffer_store_dword v26, off, s[44:47], 0 offset:428 ; 4-byte Folded Spill
	;; [unrolled: 1-line block ×3, first 2 shown]
	s_waitcnt vmcnt(4)
	v_mul_f64 v[22:23], v[14:15], v[26:27]
	v_fmac_f64_e32 v[22:23], v[12:13], v[24:25]
	v_mul_f64 v[12:13], v[12:13], v[26:27]
	v_fma_f64 v[24:25], v[14:15], v[24:25], -v[12:13]
	v_add_co_u32_e32 v12, vcc, s37, v18
	v_addc_co_u32_e32 v13, vcc, 0, v19, vcc
	ds_write_b128 v242, v[22:25] offset:27648
	global_load_dwordx4 v[24:27], v[12:13], off offset:3584
	global_load_dwordx4 v[14:17], v[4:5], off
                                        ; kill: killed $vgpr12 killed $vgpr13
	s_waitcnt vmcnt(1)
	buffer_store_dword v24, off, s[44:47], 0 offset:460 ; 4-byte Folded Spill
	s_nop 0
	buffer_store_dword v25, off, s[44:47], 0 offset:464 ; 4-byte Folded Spill
	buffer_store_dword v26, off, s[44:47], 0 offset:468 ; 4-byte Folded Spill
	;; [unrolled: 1-line block ×3, first 2 shown]
	s_waitcnt vmcnt(4)
	v_mul_f64 v[22:23], v[16:17], v[26:27]
	v_fmac_f64_e32 v[22:23], v[14:15], v[24:25]
	v_mul_f64 v[14:15], v[14:15], v[26:27]
	v_fma_f64 v[24:25], v[16:17], v[24:25], -v[14:15]
	ds_write_b128 v242, v[22:25] offset:32256
	v_or_b32_e32 v22, 0x900, v188
	v_lshlrev_b32_e32 v247, 4, v22
	global_load_dwordx4 v[24:27], v247, s[8:9]
	v_mad_u64_u32 v[14:15], s[6:7], s4, v22, 0
	v_mov_b32_e32 v16, v15
	v_mad_u64_u32 v[16:17], s[6:7], s5, v22, v[16:17]
	v_mov_b32_e32 v15, v16
	v_lshlrev_b64 v[14:15], 4, v[14:15]
	v_add_co_u32_e32 v14, vcc, v20, v14
	v_addc_co_u32_e32 v15, vcc, v21, v15, vcc
	global_load_dwordx4 v[14:17], v[14:15], off
	s_nop 0
	buffer_store_dword v22, off, s[44:47], 0 offset:12 ; 4-byte Folded Spill
	s_waitcnt vmcnt(2)
	buffer_store_dword v24, off, s[44:47], 0 offset:492 ; 4-byte Folded Spill
	s_nop 0
	buffer_store_dword v25, off, s[44:47], 0 offset:496 ; 4-byte Folded Spill
	buffer_store_dword v26, off, s[44:47], 0 offset:500 ; 4-byte Folded Spill
	;; [unrolled: 1-line block ×3, first 2 shown]
	s_waitcnt vmcnt(5)
	v_mul_f64 v[22:23], v[16:17], v[26:27]
	v_fmac_f64_e32 v[22:23], v[14:15], v[24:25]
	v_mul_f64 v[14:15], v[14:15], v[26:27]
	v_mad_u64_u32 v[26:27], s[6:7], s4, v29, v[4:5]
	v_add_co_u32_e32 v4, vcc, s38, v18
	v_addc_co_u32_e32 v5, vcc, 0, v19, vcc
	global_load_dwordx4 v[30:33], v[4:5], off offset:512
	v_add_u32_e32 v27, s3, v27
	v_fma_f64 v[24:25], v[16:17], v[24:25], -v[14:15]
	global_load_dwordx4 v[14:17], v[26:27], off
	ds_write_b128 v242, v[22:25] offset:36864
	v_add_co_u32_e32 v175, vcc, s18, v188
	s_waitcnt vmcnt(1)
	buffer_store_dword v30, off, s[44:47], 0 offset:532 ; 4-byte Folded Spill
	s_nop 0
	buffer_store_dword v31, off, s[44:47], 0 offset:536 ; 4-byte Folded Spill
	buffer_store_dword v32, off, s[44:47], 0 offset:540 ; 4-byte Folded Spill
	;; [unrolled: 1-line block ×3, first 2 shown]
	s_waitcnt vmcnt(4)
	v_mul_f64 v[22:23], v[16:17], v[32:33]
	v_fmac_f64_e32 v[22:23], v[14:15], v[30:31]
	v_mul_f64 v[14:15], v[14:15], v[32:33]
	v_fma_f64 v[24:25], v[16:17], v[30:31], -v[14:15]
	v_mov_b32_e32 v14, 0xffff6400
	v_mad_u64_u32 v[26:27], s[6:7], s4, v14, v[26:27]
	s_mul_i32 s6, s5, 0xffff6400
	s_sub_i32 s6, s6, s4
	ds_write_b128 v242, v[22:25] offset:41472
	v_add_u32_e32 v27, s6, v27
	global_load_dwordx4 v[14:17], v[26:27], off
	global_load_dwordx4 v[30:33], v242, s[8:9] offset:1536
	s_waitcnt vmcnt(0)
	buffer_store_dword v30, off, s[44:47], 0 offset:32 ; 4-byte Folded Spill
	s_nop 0
	buffer_store_dword v31, off, s[44:47], 0 offset:36 ; 4-byte Folded Spill
	buffer_store_dword v32, off, s[44:47], 0 offset:40 ; 4-byte Folded Spill
	buffer_store_dword v33, off, s[44:47], 0 offset:44 ; 4-byte Folded Spill
	v_mul_f64 v[22:23], v[16:17], v[32:33]
	v_fmac_f64_e32 v[22:23], v[14:15], v[30:31]
	v_mul_f64 v[14:15], v[14:15], v[32:33]
	v_fma_f64 v[24:25], v[16:17], v[30:31], -v[14:15]
	ds_write_b128 v242, v[22:25] offset:1536
	v_or_b32_e32 v22, 0x180, v188
	v_mad_u64_u32 v[14:15], s[6:7], s4, v22, 0
	v_mov_b32_e32 v16, v15
	v_mov_b32_e32 v184, v22
	v_mad_u64_u32 v[16:17], s[6:7], s5, v22, v[16:17]
	v_lshlrev_b32_e32 v22, 4, v184
	global_load_dwordx4 v[30:33], v22, s[8:9]
	v_mov_b32_e32 v15, v16
	v_lshlrev_b64 v[14:15], 4, v[14:15]
	v_add_co_u32_e32 v14, vcc, v20, v14
	v_addc_co_u32_e32 v15, vcc, v21, v15, vcc
	global_load_dwordx4 v[14:17], v[14:15], off
	s_movk_i32 s6, 0x2a0
	buffer_store_dword v22, off, s[44:47], 0 offset:208 ; 4-byte Folded Spill
	v_add_co_u32_e32 v166, vcc, s6, v188
	v_mad_u64_u32 v[26:27], s[6:7], s4, v29, v[26:27]
	v_add_u32_e32 v27, s3, v27
	v_addc_co_u32_e64 v167, s[6:7], 0, 0, vcc
	s_waitcnt vmcnt(2)
	buffer_store_dword v30, off, s[44:47], 0 offset:64 ; 4-byte Folded Spill
	s_nop 0
	buffer_store_dword v31, off, s[44:47], 0 offset:68 ; 4-byte Folded Spill
	buffer_store_dword v32, off, s[44:47], 0 offset:72 ; 4-byte Folded Spill
	;; [unrolled: 1-line block ×3, first 2 shown]
	s_waitcnt vmcnt(5)
	v_mul_f64 v[22:23], v[16:17], v[32:33]
	v_fmac_f64_e32 v[22:23], v[14:15], v[30:31]
	v_mul_f64 v[14:15], v[14:15], v[32:33]
	v_fma_f64 v[24:25], v[16:17], v[30:31], -v[14:15]
	ds_write_b128 v242, v[22:25] offset:6144
	global_load_dwordx4 v[14:17], v[26:27], off
	global_load_dwordx4 v[30:33], v[0:1], off offset:2560
	s_waitcnt vmcnt(0)
	buffer_store_dword v30, off, s[44:47], 0 offset:96 ; 4-byte Folded Spill
	s_nop 0
	buffer_store_dword v31, off, s[44:47], 0 offset:100 ; 4-byte Folded Spill
	buffer_store_dword v32, off, s[44:47], 0 offset:104 ; 4-byte Folded Spill
	;; [unrolled: 1-line block ×3, first 2 shown]
	v_mul_f64 v[22:23], v[16:17], v[32:33]
	v_mul_f64 v[0:1], v[14:15], v[32:33]
	v_fmac_f64_e32 v[22:23], v[14:15], v[30:31]
	v_fma_f64 v[24:25], v[16:17], v[30:31], -v[0:1]
	ds_write_b128 v242, v[22:25] offset:10752
	v_mad_u64_u32 v[22:23], s[6:7], s4, v28, v[26:27]
	v_add_u32_e32 v23, s2, v23
	global_load_dwordx4 v[14:17], v[22:23], off
	global_load_dwordx4 v[24:27], v[2:3], off offset:3072
	s_waitcnt vmcnt(0)
	buffer_store_dword v24, off, s[44:47], 0 offset:256 ; 4-byte Folded Spill
	s_nop 0
	buffer_store_dword v25, off, s[44:47], 0 offset:260 ; 4-byte Folded Spill
	buffer_store_dword v26, off, s[44:47], 0 offset:264 ; 4-byte Folded Spill
	;; [unrolled: 1-line block ×3, first 2 shown]
	v_mul_f64 v[2:3], v[14:15], v[26:27]
	v_mul_f64 v[0:1], v[16:17], v[26:27]
	v_fma_f64 v[2:3], v[16:17], v[24:25], -v[2:3]
	v_add_co_u32_e32 v16, vcc, s33, v18
	v_addc_co_u32_e32 v17, vcc, 0, v19, vcc
	v_fmac_f64_e32 v[0:1], v[14:15], v[24:25]
	global_load_dwordx4 v[24:27], v[16:17], off offset:3584
	v_mad_u64_u32 v[14:15], s[6:7], s4, v28, v[22:23]
	v_add_u32_e32 v15, s2, v15
	ds_write_b128 v242, v[0:3] offset:15360
	global_load_dwordx4 v[0:3], v[14:15], off
	s_waitcnt vmcnt(1)
	buffer_store_dword v24, off, s[44:47], 0 offset:304 ; 4-byte Folded Spill
	s_nop 0
	buffer_store_dword v25, off, s[44:47], 0 offset:308 ; 4-byte Folded Spill
	buffer_store_dword v26, off, s[44:47], 0 offset:312 ; 4-byte Folded Spill
	;; [unrolled: 1-line block ×3, first 2 shown]
	s_waitcnt vmcnt(4)
	v_mul_f64 v[22:23], v[2:3], v[26:27]
	v_fmac_f64_e32 v[22:23], v[0:1], v[24:25]
	v_mul_f64 v[0:1], v[0:1], v[26:27]
	v_fma_f64 v[24:25], v[2:3], v[24:25], -v[0:1]
	ds_write_b128 v242, v[22:25] offset:19968
	v_or_b32_e32 v22, 0x600, v188
	v_lshlrev_b32_e32 v245, 4, v22
	global_load_dwordx4 v[24:27], v245, s[8:9]
	v_mad_u64_u32 v[0:1], s[6:7], s4, v22, 0
	v_mov_b32_e32 v2, v1
	v_mad_u64_u32 v[2:3], s[6:7], s5, v22, v[2:3]
	v_mov_b32_e32 v1, v2
	v_lshlrev_b64 v[0:1], 4, v[0:1]
	v_add_co_u32_e32 v0, vcc, v20, v0
	v_addc_co_u32_e32 v1, vcc, v21, v1, vcc
	global_load_dwordx4 v[0:3], v[0:1], off
	s_nop 0
	buffer_store_dword v22, off, s[44:47], 0 ; 4-byte Folded Spill
	s_waitcnt vmcnt(2)
	buffer_store_dword v24, off, s[44:47], 0 offset:384 ; 4-byte Folded Spill
	s_nop 0
	buffer_store_dword v25, off, s[44:47], 0 offset:388 ; 4-byte Folded Spill
	buffer_store_dword v26, off, s[44:47], 0 offset:392 ; 4-byte Folded Spill
	;; [unrolled: 1-line block ×3, first 2 shown]
	s_waitcnt vmcnt(5)
	v_mul_f64 v[22:23], v[2:3], v[26:27]
	v_fmac_f64_e32 v[22:23], v[0:1], v[24:25]
	v_mul_f64 v[0:1], v[0:1], v[26:27]
	v_fma_f64 v[24:25], v[2:3], v[24:25], -v[0:1]
	ds_write_b128 v242, v[22:25] offset:24576
	v_mad_u64_u32 v[22:23], s[6:7], s4, v29, v[14:15]
	v_add_u32_e32 v23, s3, v23
	global_load_dwordx4 v[0:3], v[22:23], off
	global_load_dwordx4 v[24:27], v[12:13], off offset:512
	s_waitcnt vmcnt(0)
	buffer_store_dword v24, off, s[44:47], 0 offset:288 ; 4-byte Folded Spill
	s_nop 0
	buffer_store_dword v25, off, s[44:47], 0 offset:292 ; 4-byte Folded Spill
	buffer_store_dword v26, off, s[44:47], 0 offset:296 ; 4-byte Folded Spill
	;; [unrolled: 1-line block ×3, first 2 shown]
	v_mul_f64 v[12:13], v[2:3], v[26:27]
	v_fmac_f64_e32 v[12:13], v[0:1], v[24:25]
	v_mul_f64 v[0:1], v[0:1], v[26:27]
	v_fma_f64 v[14:15], v[2:3], v[24:25], -v[0:1]
	ds_write_b128 v242, v[12:15] offset:29184
	v_add_co_u32_e32 v14, vcc, s35, v18
	v_addc_co_u32_e32 v15, vcc, 0, v19, vcc
	global_load_dwordx4 v[24:27], v[14:15], off offset:1024
	v_mad_u64_u32 v[12:13], s[6:7], s4, v28, v[22:23]
	v_add_u32_e32 v13, s2, v13
	global_load_dwordx4 v[0:3], v[12:13], off
	s_waitcnt vmcnt(1)
	buffer_store_dword v24, off, s[44:47], 0 offset:328 ; 4-byte Folded Spill
	s_nop 0
	buffer_store_dword v25, off, s[44:47], 0 offset:332 ; 4-byte Folded Spill
	buffer_store_dword v26, off, s[44:47], 0 offset:336 ; 4-byte Folded Spill
	;; [unrolled: 1-line block ×3, first 2 shown]
	s_waitcnt vmcnt(4)
	v_mul_f64 v[22:23], v[2:3], v[26:27]
	v_fmac_f64_e32 v[22:23], v[0:1], v[24:25]
	v_mul_f64 v[0:1], v[0:1], v[26:27]
	v_mad_u64_u32 v[26:27], s[6:7], s4, v28, v[12:13]
	v_add_co_u32_e32 v12, vcc, s36, v18
	v_addc_co_u32_e32 v13, vcc, 0, v19, vcc
	global_load_dwordx4 v[30:33], v[12:13], off offset:1536
	v_add_u32_e32 v27, s2, v27
	v_fma_f64 v[24:25], v[2:3], v[24:25], -v[0:1]
	global_load_dwordx4 v[0:3], v[26:27], off
	ds_write_b128 v242, v[22:25] offset:33792
	s_waitcnt vmcnt(1)
	buffer_store_dword v30, off, s[44:47], 0 offset:364 ; 4-byte Folded Spill
	s_nop 0
	buffer_store_dword v31, off, s[44:47], 0 offset:368 ; 4-byte Folded Spill
	buffer_store_dword v32, off, s[44:47], 0 offset:372 ; 4-byte Folded Spill
	;; [unrolled: 1-line block ×3, first 2 shown]
	v_or_b32_e32 v18, 0xa80, v188
	v_lshlrev_b32_e32 v246, 4, v18
	buffer_store_dword v18, off, s[44:47], 0 offset:4 ; 4-byte Folded Spill
	s_waitcnt vmcnt(5)
	v_mul_f64 v[22:23], v[2:3], v[32:33]
	v_fmac_f64_e32 v[22:23], v[0:1], v[30:31]
	v_mul_f64 v[0:1], v[0:1], v[32:33]
	v_fma_f64 v[24:25], v[2:3], v[30:31], -v[0:1]
	global_load_dwordx4 v[30:33], v246, s[8:9]
	v_mad_u64_u32 v[0:1], s[6:7], s4, v18, 0
	v_mov_b32_e32 v2, v1
	v_mad_u64_u32 v[2:3], s[6:7], s5, v18, v[2:3]
	v_mov_b32_e32 v1, v2
	v_lshlrev_b64 v[0:1], 4, v[0:1]
	v_add_co_u32_e32 v0, vcc, v20, v0
	v_addc_co_u32_e32 v1, vcc, v21, v1, vcc
	global_load_dwordx4 v[0:3], v[0:1], off
	ds_write_b128 v242, v[22:25] offset:38400
	s_waitcnt vmcnt(1)
	buffer_store_dword v30, off, s[44:47], 0 offset:404 ; 4-byte Folded Spill
	s_nop 0
	buffer_store_dword v31, off, s[44:47], 0 offset:408 ; 4-byte Folded Spill
	buffer_store_dword v32, off, s[44:47], 0 offset:412 ; 4-byte Folded Spill
	;; [unrolled: 1-line block ×3, first 2 shown]
	s_movk_i32 s6, 0xc0
	v_add_co_u32_e32 v176, vcc, s6, v188
	s_waitcnt vmcnt(4)
	v_mul_f64 v[22:23], v[2:3], v[32:33]
	v_fmac_f64_e32 v[22:23], v[0:1], v[30:31]
	v_mul_f64 v[0:1], v[0:1], v[32:33]
	v_fma_f64 v[24:25], v[2:3], v[30:31], -v[0:1]
	v_mov_b32_e32 v0, 0xffff7600
	v_mad_u64_u32 v[18:19], s[6:7], s4, v0, v[26:27]
	s_mul_i32 s6, s5, 0xffff7600
	s_sub_i32 s6, s6, s4
	ds_write_b128 v242, v[22:25] offset:43008
	v_add_u32_e32 v19, s6, v19
	global_load_dwordx4 v[0:3], v[18:19], off
	global_load_dwordx4 v[24:27], v242, s[8:9] offset:3072
	s_waitcnt vmcnt(0)
	buffer_store_dword v24, off, s[44:47], 0 offset:176 ; 4-byte Folded Spill
	s_nop 0
	buffer_store_dword v25, off, s[44:47], 0 offset:180 ; 4-byte Folded Spill
	buffer_store_dword v26, off, s[44:47], 0 offset:184 ; 4-byte Folded Spill
	;; [unrolled: 1-line block ×3, first 2 shown]
	v_mad_u64_u32 v[18:19], s[6:7], s4, v28, v[18:19]
	v_add_u32_e32 v19, s2, v19
	v_mul_f64 v[22:23], v[2:3], v[26:27]
	v_fmac_f64_e32 v[22:23], v[0:1], v[24:25]
	v_mul_f64 v[0:1], v[0:1], v[26:27]
	v_fma_f64 v[24:25], v[2:3], v[24:25], -v[0:1]
	ds_write_b128 v242, v[22:25] offset:3072
	global_load_dwordx4 v[0:3], v[18:19], off
	global_load_dwordx4 v[24:27], v[6:7], off offset:3584
	s_waitcnt vmcnt(0)
	buffer_store_dword v24, off, s[44:47], 0 offset:272 ; 4-byte Folded Spill
	s_nop 0
	buffer_store_dword v25, off, s[44:47], 0 offset:276 ; 4-byte Folded Spill
	buffer_store_dword v26, off, s[44:47], 0 offset:280 ; 4-byte Folded Spill
	;; [unrolled: 1-line block ×3, first 2 shown]
	v_or_b32_e32 v6, 0x300, v188
	v_lshlrev_b32_e32 v241, 4, v6
	v_mov_b32_e32 v189, v6
	v_mul_f64 v[22:23], v[2:3], v[26:27]
	v_fmac_f64_e32 v[22:23], v[0:1], v[24:25]
	v_mul_f64 v[0:1], v[0:1], v[26:27]
	v_fma_f64 v[24:25], v[2:3], v[24:25], -v[0:1]
	ds_write_b128 v242, v[22:25] offset:7680
	global_load_dwordx4 v[24:27], v241, s[8:9]
	v_mad_u64_u32 v[0:1], s[6:7], s4, v6, 0
	v_mov_b32_e32 v2, v1
	v_mad_u64_u32 v[2:3], s[6:7], s5, v6, v[2:3]
	v_mov_b32_e32 v1, v2
	v_lshlrev_b64 v[0:1], 4, v[0:1]
	v_add_co_u32_e32 v0, vcc, v20, v0
	v_addc_co_u32_e32 v1, vcc, v21, v1, vcc
	global_load_dwordx4 v[0:3], v[0:1], off
	s_waitcnt vmcnt(1)
	buffer_store_dword v24, off, s[44:47], 0 offset:128 ; 4-byte Folded Spill
	s_nop 0
	buffer_store_dword v25, off, s[44:47], 0 offset:132 ; 4-byte Folded Spill
	buffer_store_dword v26, off, s[44:47], 0 offset:136 ; 4-byte Folded Spill
	;; [unrolled: 1-line block ×3, first 2 shown]
	s_movk_i32 s6, 0x420
	v_add_co_u32_e32 v174, vcc, s6, v188
	v_mad_u64_u32 v[6:7], s[6:7], s4, v29, v[18:19]
	v_add_u32_e32 v7, s3, v7
	s_waitcnt vmcnt(4)
	v_mul_f64 v[22:23], v[2:3], v[26:27]
	v_fmac_f64_e32 v[22:23], v[0:1], v[24:25]
	v_mul_f64 v[0:1], v[0:1], v[26:27]
	v_fma_f64 v[24:25], v[2:3], v[24:25], -v[0:1]
	ds_write_b128 v242, v[22:25] offset:12288
	global_load_dwordx4 v[0:3], v[6:7], off
	global_load_dwordx4 v[22:25], v[16:17], off offset:512
	s_waitcnt vmcnt(0)
	buffer_store_dword v22, off, s[44:47], 0 offset:112 ; 4-byte Folded Spill
	s_nop 0
	buffer_store_dword v23, off, s[44:47], 0 offset:116 ; 4-byte Folded Spill
	buffer_store_dword v24, off, s[44:47], 0 offset:120 ; 4-byte Folded Spill
	buffer_store_dword v25, off, s[44:47], 0 offset:124 ; 4-byte Folded Spill
	v_mad_u64_u32 v[6:7], s[6:7], s4, v28, v[6:7]
	v_add_u32_e32 v7, s2, v7
	v_mul_f64 v[16:17], v[2:3], v[24:25]
	v_fmac_f64_e32 v[16:17], v[0:1], v[22:23]
	v_mul_f64 v[0:1], v[0:1], v[24:25]
	v_fma_f64 v[18:19], v[2:3], v[22:23], -v[0:1]
	ds_write_b128 v242, v[16:19] offset:16896
	global_load_dwordx4 v[0:3], v[6:7], off
	global_load_dwordx4 v[22:25], v[10:11], off offset:1024
	s_waitcnt vmcnt(0)
	buffer_store_dword v22, off, s[44:47], 0 offset:160 ; 4-byte Folded Spill
	s_nop 0
	buffer_store_dword v23, off, s[44:47], 0 offset:164 ; 4-byte Folded Spill
	buffer_store_dword v24, off, s[44:47], 0 offset:168 ; 4-byte Folded Spill
	buffer_store_dword v25, off, s[44:47], 0 offset:172 ; 4-byte Folded Spill
	v_mad_u64_u32 v[10:11], s[6:7], s4, v28, v[6:7]
	v_add_u32_e32 v11, s2, v11
	;; [unrolled: 15-line block ×3, first 2 shown]
	v_mul_f64 v[6:7], v[2:3], v[18:19]
	v_fmac_f64_e32 v[6:7], v[0:1], v[16:17]
	v_mul_f64 v[0:1], v[0:1], v[18:19]
	v_fma_f64 v[8:9], v[2:3], v[16:17], -v[0:1]
	ds_write_b128 v242, v[6:9] offset:26112
	v_or_b32_e32 v6, 0x780, v188
	v_lshlrev_b32_e32 v240, 4, v6
	global_load_dwordx4 v[16:19], v240, s[8:9]
	v_mad_u64_u32 v[0:1], s[6:7], s4, v6, 0
	v_mov_b32_e32 v2, v1
	v_mad_u64_u32 v[2:3], s[6:7], s5, v6, v[2:3]
	v_mov_b32_e32 v1, v2
	v_lshlrev_b64 v[0:1], 4, v[0:1]
	v_add_co_u32_e32 v0, vcc, v20, v0
	v_addc_co_u32_e32 v1, vcc, v21, v1, vcc
	global_load_dwordx4 v[0:3], v[0:1], off
	s_mov_b32 s9, 0xbfee6f0e
	buffer_store_dword v6, off, s[44:47], 0 offset:8 ; 4-byte Folded Spill
	s_waitcnt vmcnt(2)
	buffer_store_dword v16, off, s[44:47], 0 offset:476 ; 4-byte Folded Spill
	s_nop 0
	buffer_store_dword v17, off, s[44:47], 0 offset:480 ; 4-byte Folded Spill
	buffer_store_dword v18, off, s[44:47], 0 offset:484 ; 4-byte Folded Spill
	;; [unrolled: 1-line block ×3, first 2 shown]
	s_waitcnt vmcnt(5)
	v_mul_f64 v[6:7], v[2:3], v[18:19]
	v_fmac_f64_e32 v[6:7], v[0:1], v[16:17]
	v_mul_f64 v[0:1], v[0:1], v[18:19]
	v_fma_f64 v[8:9], v[2:3], v[16:17], -v[0:1]
	ds_write_b128 v242, v[6:9] offset:30720
	global_load_dwordx4 v[0:3], v[10:11], off
	s_nop 0
	global_load_dwordx4 v[14:17], v[14:15], off offset:2560
	s_waitcnt vmcnt(0)
	buffer_store_dword v14, off, s[44:47], 0 offset:516 ; 4-byte Folded Spill
	s_nop 0
	buffer_store_dword v15, off, s[44:47], 0 offset:520 ; 4-byte Folded Spill
	buffer_store_dword v16, off, s[44:47], 0 offset:524 ; 4-byte Folded Spill
	;; [unrolled: 1-line block ×3, first 2 shown]
	v_mad_u64_u32 v[10:11], s[6:7], s4, v28, v[10:11]
	v_add_u32_e32 v11, s2, v11
	s_mov_b32 s6, 0x372fe950
	s_mov_b32 s7, 0x3fd3c6ef
	s_mov_b32 s24, s6
	v_mul_f64 v[6:7], v[2:3], v[16:17]
	v_fmac_f64_e32 v[6:7], v[0:1], v[14:15]
	v_mul_f64 v[0:1], v[0:1], v[16:17]
	v_fma_f64 v[8:9], v[2:3], v[14:15], -v[0:1]
	ds_write_b128 v242, v[6:9] offset:35328
	global_load_dwordx4 v[0:3], v[10:11], off
	s_nop 0
	global_load_dwordx4 v[12:15], v[12:13], off offset:3072
	s_waitcnt vmcnt(0)
	buffer_store_dword v12, off, s[44:47], 0 offset:436 ; 4-byte Folded Spill
	s_nop 0
	buffer_store_dword v13, off, s[44:47], 0 offset:440 ; 4-byte Folded Spill
	buffer_store_dword v14, off, s[44:47], 0 offset:444 ; 4-byte Folded Spill
	;; [unrolled: 1-line block ×3, first 2 shown]
	v_mul_f64 v[6:7], v[2:3], v[14:15]
	v_fmac_f64_e32 v[6:7], v[0:1], v[12:13]
	v_mul_f64 v[0:1], v[0:1], v[14:15]
	v_fma_f64 v[8:9], v[2:3], v[12:13], -v[0:1]
	v_mad_u64_u32 v[0:1], s[4:5], s4, v28, v[10:11]
	ds_write_b128 v242, v[6:9] offset:39936
	v_add_u32_e32 v1, s2, v1
	global_load_dwordx4 v[0:3], v[0:1], off
	s_nop 0
	global_load_dwordx4 v[4:7], v[4:5], off offset:3584
	s_mov_b32 s4, 0x134454ff
	s_mov_b32 s5, 0x3fee6f0e
	;; [unrolled: 1-line block ×6, first 2 shown]
	s_waitcnt vmcnt(0)
	v_pk_mov_b32 v[8:9], v[6:7], v[6:7] op_sel:[0,1]
	v_pk_mov_b32 v[6:7], v[4:5], v[4:5] op_sel:[0,1]
	v_mul_f64 v[4:5], v[2:3], v[8:9]
	v_fmac_f64_e32 v[4:5], v[0:1], v[6:7]
	v_mul_f64 v[0:1], v[0:1], v[8:9]
	buffer_store_dword v6, off, s[44:47], 0 offset:224 ; 4-byte Folded Spill
	s_nop 0
	buffer_store_dword v7, off, s[44:47], 0 offset:228 ; 4-byte Folded Spill
	buffer_store_dword v8, off, s[44:47], 0 offset:232 ; 4-byte Folded Spill
	;; [unrolled: 1-line block ×3, first 2 shown]
	v_fma_f64 v[6:7], v[2:3], v[6:7], -v[0:1]
	ds_write_b128 v242, v[4:7] offset:44544
	s_waitcnt lgkmcnt(0)
	s_barrier
	ds_read_b128 v[36:39], v242
	ds_read_b128 v[24:27], v242 offset:4608
	ds_read_b128 v[16:19], v242 offset:9216
	;; [unrolled: 1-line block ×29, first 2 shown]
	s_waitcnt lgkmcnt(14)
	v_add_f64 v[120:121], v[36:37], v[16:17]
	v_add_f64 v[120:121], v[120:121], v[28:29]
	;; [unrolled: 1-line block ×5, first 2 shown]
	v_fma_f64 v[120:121], -0.5, v[120:121], v[36:37]
	v_add_f64 v[126:127], v[18:19], -v[42:43]
	v_fma_f64 v[124:125], s[4:5], v[126:127], v[120:121]
	v_add_f64 v[128:129], v[30:31], -v[34:35]
	v_add_f64 v[130:131], v[16:17], -v[28:29]
	;; [unrolled: 1-line block ×3, first 2 shown]
	v_fmac_f64_e32 v[120:121], s[8:9], v[126:127]
	v_fmac_f64_e32 v[124:125], s[2:3], v[128:129]
	v_add_f64 v[130:131], v[130:131], v[132:133]
	v_fmac_f64_e32 v[120:121], s[14:15], v[128:129]
	v_fmac_f64_e32 v[124:125], s[6:7], v[130:131]
	;; [unrolled: 1-line block ×3, first 2 shown]
	v_add_f64 v[130:131], v[16:17], v[40:41]
	v_fmac_f64_e32 v[36:37], -0.5, v[130:131]
	v_fma_f64 v[132:133], s[8:9], v[128:129], v[36:37]
	v_fmac_f64_e32 v[36:37], s[4:5], v[128:129]
	v_fmac_f64_e32 v[132:133], s[2:3], v[126:127]
	;; [unrolled: 1-line block ×3, first 2 shown]
	v_add_f64 v[126:127], v[38:39], v[18:19]
	v_add_f64 v[126:127], v[126:127], v[30:31]
	;; [unrolled: 1-line block ×3, first 2 shown]
	v_add_f64 v[130:131], v[28:29], -v[16:17]
	v_add_f64 v[134:135], v[32:33], -v[40:41]
	v_add_f64 v[128:129], v[126:127], v[42:43]
	v_add_f64 v[126:127], v[30:31], v[34:35]
	;; [unrolled: 1-line block ×3, first 2 shown]
	v_fma_f64 v[126:127], -0.5, v[126:127], v[38:39]
	v_add_f64 v[16:17], v[16:17], -v[40:41]
	v_fmac_f64_e32 v[132:133], s[6:7], v[130:131]
	v_fmac_f64_e32 v[36:37], s[6:7], v[130:131]
	v_fma_f64 v[130:131], s[8:9], v[16:17], v[126:127]
	v_add_f64 v[28:29], v[28:29], -v[32:33]
	v_add_f64 v[32:33], v[18:19], -v[30:31]
	;; [unrolled: 1-line block ×3, first 2 shown]
	v_fmac_f64_e32 v[126:127], s[4:5], v[16:17]
	v_fmac_f64_e32 v[130:131], s[14:15], v[28:29]
	v_add_f64 v[32:33], v[32:33], v[40:41]
	v_fmac_f64_e32 v[126:127], s[2:3], v[28:29]
	v_fmac_f64_e32 v[130:131], s[6:7], v[32:33]
	;; [unrolled: 1-line block ×3, first 2 shown]
	v_add_f64 v[32:33], v[18:19], v[42:43]
	v_fmac_f64_e32 v[38:39], -0.5, v[32:33]
	v_fma_f64 v[134:135], s[4:5], v[28:29], v[38:39]
	v_fmac_f64_e32 v[38:39], s[8:9], v[28:29]
	v_fmac_f64_e32 v[134:135], s[14:15], v[16:17]
	v_fmac_f64_e32 v[38:39], s[2:3], v[16:17]
	v_add_f64 v[16:17], v[24:25], v[0:1]
	v_add_f64 v[16:17], v[16:17], v[4:5]
	;; [unrolled: 1-line block ×3, first 2 shown]
	v_add_f64 v[18:19], v[30:31], -v[18:19]
	v_add_f64 v[30:31], v[34:35], -v[42:43]
	v_add_f64 v[28:29], v[16:17], v[12:13]
	v_add_f64 v[16:17], v[4:5], v[8:9]
	;; [unrolled: 1-line block ×3, first 2 shown]
	v_fma_f64 v[30:31], -0.5, v[16:17], v[24:25]
	v_add_f64 v[16:17], v[2:3], -v[14:15]
	v_fmac_f64_e32 v[134:135], s[6:7], v[18:19]
	v_fmac_f64_e32 v[38:39], s[6:7], v[18:19]
	v_fma_f64 v[18:19], s[4:5], v[16:17], v[30:31]
	v_add_f64 v[32:33], v[6:7], -v[10:11]
	v_add_f64 v[34:35], v[0:1], -v[4:5]
	;; [unrolled: 1-line block ×3, first 2 shown]
	v_fmac_f64_e32 v[30:31], s[8:9], v[16:17]
	v_fmac_f64_e32 v[18:19], s[2:3], v[32:33]
	v_add_f64 v[34:35], v[34:35], v[40:41]
	v_fmac_f64_e32 v[30:31], s[14:15], v[32:33]
	v_fmac_f64_e32 v[18:19], s[6:7], v[34:35]
	;; [unrolled: 1-line block ×3, first 2 shown]
	v_add_f64 v[34:35], v[0:1], v[12:13]
	v_fmac_f64_e32 v[24:25], -0.5, v[34:35]
	v_fma_f64 v[34:35], s[8:9], v[32:33], v[24:25]
	v_fmac_f64_e32 v[24:25], s[4:5], v[32:33]
	v_fmac_f64_e32 v[34:35], s[2:3], v[16:17]
	v_fmac_f64_e32 v[24:25], s[14:15], v[16:17]
	v_add_f64 v[16:17], v[26:27], v[2:3]
	v_add_f64 v[16:17], v[16:17], v[6:7]
	v_add_f64 v[40:41], v[4:5], -v[0:1]
	v_add_f64 v[42:43], v[8:9], -v[12:13]
	v_add_f64 v[16:17], v[16:17], v[10:11]
	v_add_f64 v[40:41], v[40:41], v[42:43]
	;; [unrolled: 1-line block ×4, first 2 shown]
	v_fma_f64 v[32:33], -0.5, v[16:17], v[26:27]
	v_add_f64 v[0:1], v[0:1], -v[12:13]
	v_fmac_f64_e32 v[34:35], s[6:7], v[40:41]
	v_fmac_f64_e32 v[24:25], s[6:7], v[40:41]
	v_fma_f64 v[40:41], s[8:9], v[0:1], v[32:33]
	v_add_f64 v[4:5], v[4:5], -v[8:9]
	v_add_f64 v[8:9], v[2:3], -v[6:7]
	v_add_f64 v[12:13], v[14:15], -v[10:11]
	v_fmac_f64_e32 v[32:33], s[4:5], v[0:1]
	v_fmac_f64_e32 v[40:41], s[14:15], v[4:5]
	v_add_f64 v[8:9], v[8:9], v[12:13]
	v_fmac_f64_e32 v[32:33], s[2:3], v[4:5]
	v_fmac_f64_e32 v[40:41], s[6:7], v[8:9]
	v_fmac_f64_e32 v[32:33], s[6:7], v[8:9]
	v_add_f64 v[8:9], v[2:3], v[14:15]
	v_fmac_f64_e32 v[26:27], -0.5, v[8:9]
	v_fma_f64 v[136:137], s[4:5], v[4:5], v[26:27]
	v_add_f64 v[2:3], v[6:7], -v[2:3]
	v_add_f64 v[6:7], v[10:11], -v[14:15]
	v_fmac_f64_e32 v[26:27], s[8:9], v[4:5]
	v_add_f64 v[2:3], v[2:3], v[6:7]
	v_fmac_f64_e32 v[26:27], s[2:3], v[0:1]
	v_fmac_f64_e32 v[26:27], s[6:7], v[2:3]
	v_mul_f64 v[142:143], v[24:25], s[24:25]
	v_mul_f64 v[144:145], v[30:31], s[22:23]
	;; [unrolled: 1-line block ×3, first 2 shown]
	v_fmac_f64_e32 v[142:143], s[4:5], v[26:27]
	v_fmac_f64_e32 v[144:145], s[2:3], v[32:33]
	v_mul_f64 v[146:147], v[18:19], s[14:15]
	v_fmac_f64_e32 v[138:139], s[2:3], v[40:41]
	v_add_f64 v[16:17], v[36:37], v[142:143]
	v_add_f64 v[12:13], v[120:121], v[144:145]
	v_fmac_f64_e32 v[146:147], s[26:27], v[40:41]
	v_add_f64 v[40:41], v[36:37], -v[142:143]
	v_add_f64 v[36:37], v[120:121], -v[144:145]
	v_add_f64 v[120:121], v[64:65], v[84:85]
	v_fmac_f64_e32 v[136:137], s[14:15], v[0:1]
	v_add_f64 v[120:121], v[120:121], v[108:109]
	v_fmac_f64_e32 v[136:137], s[6:7], v[2:3]
	v_mul_f64 v[148:149], v[34:35], s[8:9]
	s_waitcnt lgkmcnt(13)
	v_add_f64 v[120:121], v[120:121], v[112:113]
	v_add_f64 v[8:9], v[122:123], v[28:29]
	;; [unrolled: 1-line block ×3, first 2 shown]
	v_mul_f64 v[140:141], v[136:137], s[4:5]
	v_fmac_f64_e32 v[148:149], s[6:7], v[136:137]
	v_mul_f64 v[136:137], v[26:27], s[24:25]
	v_mul_f64 v[150:151], v[32:33], s[22:23]
	v_add_f64 v[32:33], v[122:123], -v[28:29]
	v_add_f64 v[28:29], v[124:125], -v[138:139]
	s_waitcnt lgkmcnt(11)
	v_add_f64 v[124:125], v[120:121], v[116:117]
	v_add_f64 v[120:121], v[108:109], v[112:113]
	v_fmac_f64_e32 v[140:141], s[6:7], v[34:35]
	v_fmac_f64_e32 v[136:137], s[8:9], v[24:25]
	;; [unrolled: 1-line block ×3, first 2 shown]
	v_fma_f64 v[120:121], -0.5, v[120:121], v[64:65]
	v_add_f64 v[122:123], v[86:87], -v[118:119]
	v_add_f64 v[0:1], v[132:133], v[140:141]
	v_add_f64 v[10:11], v[128:129], v[42:43]
	v_add_f64 v[6:7], v[130:131], v[146:147]
	v_add_f64 v[18:19], v[38:39], v[136:137]
	v_add_f64 v[14:15], v[126:127], v[150:151]
	v_add_f64 v[24:25], v[132:133], -v[140:141]
	v_add_f64 v[34:35], v[128:129], -v[42:43]
	;; [unrolled: 1-line block ×5, first 2 shown]
	v_fma_f64 v[128:129], s[4:5], v[122:123], v[120:121]
	v_add_f64 v[126:127], v[110:111], -v[114:115]
	v_add_f64 v[130:131], v[84:85], -v[108:109]
	;; [unrolled: 1-line block ×3, first 2 shown]
	v_fmac_f64_e32 v[120:121], s[8:9], v[122:123]
	v_fmac_f64_e32 v[128:129], s[2:3], v[126:127]
	v_add_f64 v[130:131], v[130:131], v[132:133]
	v_fmac_f64_e32 v[120:121], s[14:15], v[126:127]
	v_fmac_f64_e32 v[128:129], s[6:7], v[130:131]
	;; [unrolled: 1-line block ×3, first 2 shown]
	v_add_f64 v[130:131], v[84:85], v[116:117]
	v_fmac_f64_e32 v[64:65], -0.5, v[130:131]
	v_fma_f64 v[132:133], s[8:9], v[126:127], v[64:65]
	v_fmac_f64_e32 v[64:65], s[4:5], v[126:127]
	v_fmac_f64_e32 v[132:133], s[2:3], v[122:123]
	;; [unrolled: 1-line block ×3, first 2 shown]
	v_add_f64 v[122:123], v[66:67], v[86:87]
	v_add_f64 v[122:123], v[122:123], v[110:111]
	;; [unrolled: 1-line block ×4, first 2 shown]
	v_add_f64 v[26:27], v[134:135], -v[148:149]
	v_add_f64 v[130:131], v[108:109], -v[84:85]
	;; [unrolled: 1-line block ×3, first 2 shown]
	v_add_f64 v[126:127], v[122:123], v[118:119]
	v_add_f64 v[122:123], v[110:111], v[114:115]
	;; [unrolled: 1-line block ×3, first 2 shown]
	v_fma_f64 v[122:123], -0.5, v[122:123], v[66:67]
	v_add_f64 v[84:85], v[84:85], -v[116:117]
	v_fmac_f64_e32 v[132:133], s[6:7], v[130:131]
	v_fmac_f64_e32 v[64:65], s[6:7], v[130:131]
	v_fma_f64 v[130:131], s[8:9], v[84:85], v[122:123]
	v_add_f64 v[108:109], v[108:109], -v[112:113]
	v_add_f64 v[112:113], v[86:87], -v[110:111]
	;; [unrolled: 1-line block ×3, first 2 shown]
	v_fmac_f64_e32 v[122:123], s[4:5], v[84:85]
	v_fmac_f64_e32 v[130:131], s[14:15], v[108:109]
	v_add_f64 v[112:113], v[112:113], v[116:117]
	v_fmac_f64_e32 v[122:123], s[2:3], v[108:109]
	v_fmac_f64_e32 v[130:131], s[6:7], v[112:113]
	;; [unrolled: 1-line block ×3, first 2 shown]
	v_add_f64 v[112:113], v[86:87], v[118:119]
	v_fmac_f64_e32 v[66:67], -0.5, v[112:113]
	v_fma_f64 v[134:135], s[4:5], v[108:109], v[66:67]
	v_fmac_f64_e32 v[66:67], s[8:9], v[108:109]
	v_fmac_f64_e32 v[134:135], s[14:15], v[84:85]
	;; [unrolled: 1-line block ×3, first 2 shown]
	v_add_f64 v[84:85], v[104:105], v[68:69]
	v_add_f64 v[84:85], v[84:85], v[72:73]
	;; [unrolled: 1-line block ×3, first 2 shown]
	v_add_f64 v[86:87], v[110:111], -v[86:87]
	v_add_f64 v[110:111], v[114:115], -v[118:119]
	s_waitcnt lgkmcnt(10)
	v_add_f64 v[108:109], v[84:85], v[80:81]
	v_add_f64 v[84:85], v[72:73], v[76:77]
	;; [unrolled: 1-line block ×3, first 2 shown]
	v_fma_f64 v[110:111], -0.5, v[84:85], v[104:105]
	v_add_f64 v[84:85], v[70:71], -v[82:83]
	v_fmac_f64_e32 v[134:135], s[6:7], v[86:87]
	v_fmac_f64_e32 v[66:67], s[6:7], v[86:87]
	v_fma_f64 v[86:87], s[4:5], v[84:85], v[110:111]
	v_add_f64 v[112:113], v[74:75], -v[78:79]
	v_add_f64 v[114:115], v[68:69], -v[72:73]
	;; [unrolled: 1-line block ×3, first 2 shown]
	v_fmac_f64_e32 v[110:111], s[8:9], v[84:85]
	v_fmac_f64_e32 v[86:87], s[2:3], v[112:113]
	v_add_f64 v[114:115], v[114:115], v[116:117]
	v_fmac_f64_e32 v[110:111], s[14:15], v[112:113]
	v_fmac_f64_e32 v[86:87], s[6:7], v[114:115]
	;; [unrolled: 1-line block ×3, first 2 shown]
	v_add_f64 v[114:115], v[68:69], v[80:81]
	v_fmac_f64_e32 v[104:105], -0.5, v[114:115]
	v_fma_f64 v[116:117], s[8:9], v[112:113], v[104:105]
	v_fmac_f64_e32 v[104:105], s[4:5], v[112:113]
	v_fmac_f64_e32 v[116:117], s[2:3], v[84:85]
	;; [unrolled: 1-line block ×3, first 2 shown]
	v_add_f64 v[84:85], v[106:107], v[70:71]
	v_add_f64 v[114:115], v[72:73], -v[68:69]
	v_add_f64 v[118:119], v[76:77], -v[80:81]
	v_add_f64 v[84:85], v[84:85], v[74:75]
	v_add_f64 v[114:115], v[114:115], v[118:119]
	;; [unrolled: 1-line block ×3, first 2 shown]
	v_fmac_f64_e32 v[116:117], s[6:7], v[114:115]
	v_fmac_f64_e32 v[104:105], s[6:7], v[114:115]
	v_add_f64 v[114:115], v[84:85], v[82:83]
	v_add_f64 v[84:85], v[74:75], v[78:79]
	v_fma_f64 v[112:113], -0.5, v[84:85], v[106:107]
	v_add_f64 v[68:69], v[68:69], -v[80:81]
	v_fma_f64 v[118:119], s[8:9], v[68:69], v[112:113]
	v_add_f64 v[72:73], v[72:73], -v[76:77]
	v_add_f64 v[76:77], v[70:71], -v[74:75]
	;; [unrolled: 1-line block ×3, first 2 shown]
	v_fmac_f64_e32 v[112:113], s[4:5], v[68:69]
	v_fmac_f64_e32 v[118:119], s[14:15], v[72:73]
	v_add_f64 v[76:77], v[76:77], v[80:81]
	v_fmac_f64_e32 v[112:113], s[2:3], v[72:73]
	v_fmac_f64_e32 v[118:119], s[6:7], v[76:77]
	;; [unrolled: 1-line block ×3, first 2 shown]
	v_add_f64 v[76:77], v[70:71], v[82:83]
	v_fmac_f64_e32 v[106:107], -0.5, v[76:77]
	v_fma_f64 v[136:137], s[4:5], v[72:73], v[106:107]
	v_add_f64 v[70:71], v[74:75], -v[70:71]
	v_add_f64 v[74:75], v[78:79], -v[82:83]
	v_fmac_f64_e32 v[106:107], s[8:9], v[72:73]
	v_fmac_f64_e32 v[136:137], s[14:15], v[68:69]
	v_add_f64 v[70:71], v[70:71], v[74:75]
	v_fmac_f64_e32 v[106:107], s[2:3], v[68:69]
	v_fmac_f64_e32 v[136:137], s[6:7], v[70:71]
	;; [unrolled: 1-line block ×3, first 2 shown]
	v_mul_f64 v[142:143], v[104:105], s[24:25]
	v_mul_f64 v[144:145], v[110:111], s[22:23]
	v_mul_f64 v[138:139], v[86:87], s[26:27]
	v_mul_f64 v[140:141], v[136:137], s[4:5]
	v_fmac_f64_e32 v[142:143], s[4:5], v[106:107]
	v_fmac_f64_e32 v[144:145], s[2:3], v[112:113]
	v_mul_f64 v[146:147], v[86:87], s[14:15]
	v_fmac_f64_e32 v[138:139], s[2:3], v[118:119]
	v_fmac_f64_e32 v[140:141], s[6:7], v[116:117]
	v_add_f64 v[84:85], v[64:65], v[142:143]
	v_add_f64 v[80:81], v[120:121], v[144:145]
	v_fmac_f64_e32 v[146:147], s[26:27], v[118:119]
	v_mul_f64 v[118:119], v[116:117], s[8:9]
	v_add_f64 v[116:117], v[64:65], -v[142:143]
	v_add_f64 v[64:65], v[120:121], -v[144:145]
	s_waitcnt lgkmcnt(7)
	v_add_f64 v[120:121], v[20:21], v[88:89]
	s_waitcnt lgkmcnt(5)
	v_add_f64 v[120:121], v[120:121], v[92:93]
	;; [unrolled: 2-line block ×3, first 2 shown]
	v_add_f64 v[78:79], v[126:127], v[114:115]
	v_fmac_f64_e32 v[118:119], s[6:7], v[136:137]
	v_mul_f64 v[136:137], v[106:107], s[24:25]
	v_mul_f64 v[148:149], v[112:113], s[22:23]
	v_add_f64 v[114:115], v[126:127], -v[114:115]
	s_waitcnt lgkmcnt(1)
	v_add_f64 v[126:127], v[120:121], v[100:101]
	v_add_f64 v[120:121], v[92:93], v[96:97]
	;; [unrolled: 1-line block ×3, first 2 shown]
	v_fmac_f64_e32 v[136:137], s[8:9], v[104:105]
	v_fmac_f64_e32 v[148:149], s[14:15], v[110:111]
	v_add_f64 v[112:113], v[124:125], -v[108:109]
	v_fma_f64 v[124:125], -0.5, v[120:121], v[20:21]
	v_add_f64 v[120:121], v[90:91], -v[102:103]
	v_add_f64 v[72:73], v[128:129], v[138:139]
	v_add_f64 v[68:69], v[132:133], v[140:141]
	;; [unrolled: 1-line block ×6, first 2 shown]
	v_add_f64 v[108:109], v[128:129], -v[138:139]
	v_add_f64 v[104:105], v[132:133], -v[140:141]
	;; [unrolled: 1-line block ×6, first 2 shown]
	v_fma_f64 v[130:131], s[4:5], v[120:121], v[124:125]
	v_add_f64 v[122:123], v[94:95], -v[98:99]
	v_add_f64 v[128:129], v[88:89], -v[92:93]
	;; [unrolled: 1-line block ×3, first 2 shown]
	v_fmac_f64_e32 v[124:125], s[8:9], v[120:121]
	v_fmac_f64_e32 v[130:131], s[2:3], v[122:123]
	v_add_f64 v[128:129], v[128:129], v[132:133]
	v_fmac_f64_e32 v[124:125], s[14:15], v[122:123]
	v_fmac_f64_e32 v[130:131], s[6:7], v[128:129]
	;; [unrolled: 1-line block ×3, first 2 shown]
	v_add_f64 v[128:129], v[88:89], v[100:101]
	v_fmac_f64_e32 v[20:21], -0.5, v[128:129]
	v_fma_f64 v[134:135], s[8:9], v[122:123], v[20:21]
	v_fmac_f64_e32 v[20:21], s[4:5], v[122:123]
	v_fmac_f64_e32 v[134:135], s[2:3], v[120:121]
	v_fmac_f64_e32 v[20:21], s[14:15], v[120:121]
	v_add_f64 v[120:121], v[22:23], v[90:91]
	v_add_f64 v[128:129], v[92:93], -v[88:89]
	v_add_f64 v[132:133], v[96:97], -v[100:101]
	v_add_f64 v[120:121], v[120:121], v[94:95]
	v_add_f64 v[128:129], v[128:129], v[132:133]
	;; [unrolled: 1-line block ×3, first 2 shown]
	v_fmac_f64_e32 v[134:135], s[6:7], v[128:129]
	v_fmac_f64_e32 v[20:21], s[6:7], v[128:129]
	v_add_f64 v[128:129], v[120:121], v[102:103]
	v_add_f64 v[120:121], v[94:95], v[98:99]
	v_fma_f64 v[120:121], -0.5, v[120:121], v[22:23]
	v_add_f64 v[88:89], v[88:89], -v[100:101]
	v_fma_f64 v[132:133], s[8:9], v[88:89], v[120:121]
	v_add_f64 v[92:93], v[92:93], -v[96:97]
	v_add_f64 v[96:97], v[90:91], -v[94:95]
	v_add_f64 v[100:101], v[102:103], -v[98:99]
	v_fmac_f64_e32 v[120:121], s[4:5], v[88:89]
	v_fmac_f64_e32 v[132:133], s[14:15], v[92:93]
	v_add_f64 v[96:97], v[96:97], v[100:101]
	v_fmac_f64_e32 v[120:121], s[2:3], v[92:93]
	v_fmac_f64_e32 v[132:133], s[6:7], v[96:97]
	;; [unrolled: 1-line block ×3, first 2 shown]
	v_add_f64 v[96:97], v[90:91], v[102:103]
	v_fmac_f64_e32 v[22:23], -0.5, v[96:97]
	v_fma_f64 v[136:137], s[4:5], v[92:93], v[22:23]
	v_fmac_f64_e32 v[22:23], s[8:9], v[92:93]
	v_fmac_f64_e32 v[136:137], s[14:15], v[88:89]
	v_fmac_f64_e32 v[22:23], s[2:3], v[88:89]
	v_add_f64 v[88:89], v[44:45], v[48:49]
	v_add_f64 v[88:89], v[88:89], v[52:53]
	;; [unrolled: 1-line block ×3, first 2 shown]
	v_add_f64 v[90:91], v[94:95], -v[90:91]
	v_add_f64 v[94:95], v[98:99], -v[102:103]
	s_waitcnt lgkmcnt(0)
	v_add_f64 v[92:93], v[88:89], v[60:61]
	v_add_f64 v[88:89], v[52:53], v[56:57]
	;; [unrolled: 1-line block ×3, first 2 shown]
	v_fma_f64 v[94:95], -0.5, v[88:89], v[44:45]
	v_add_f64 v[88:89], v[50:51], -v[62:63]
	v_fmac_f64_e32 v[136:137], s[6:7], v[90:91]
	v_fmac_f64_e32 v[22:23], s[6:7], v[90:91]
	v_fma_f64 v[90:91], s[4:5], v[88:89], v[94:95]
	v_add_f64 v[96:97], v[54:55], -v[58:59]
	v_add_f64 v[98:99], v[48:49], -v[52:53]
	;; [unrolled: 1-line block ×3, first 2 shown]
	v_fmac_f64_e32 v[94:95], s[8:9], v[88:89]
	v_fmac_f64_e32 v[90:91], s[2:3], v[96:97]
	v_add_f64 v[98:99], v[98:99], v[100:101]
	v_fmac_f64_e32 v[94:95], s[14:15], v[96:97]
	v_fmac_f64_e32 v[90:91], s[6:7], v[98:99]
	;; [unrolled: 1-line block ×3, first 2 shown]
	v_add_f64 v[98:99], v[48:49], v[60:61]
	v_fmac_f64_e32 v[44:45], -0.5, v[98:99]
	v_fma_f64 v[100:101], s[8:9], v[96:97], v[44:45]
	v_fmac_f64_e32 v[44:45], s[4:5], v[96:97]
	v_fmac_f64_e32 v[100:101], s[2:3], v[88:89]
	;; [unrolled: 1-line block ×3, first 2 shown]
	v_add_f64 v[88:89], v[46:47], v[50:51]
	v_add_f64 v[98:99], v[52:53], -v[48:49]
	v_add_f64 v[102:103], v[56:57], -v[60:61]
	v_add_f64 v[88:89], v[88:89], v[54:55]
	v_add_f64 v[98:99], v[98:99], v[102:103]
	;; [unrolled: 1-line block ×3, first 2 shown]
	v_fmac_f64_e32 v[100:101], s[6:7], v[98:99]
	v_fmac_f64_e32 v[44:45], s[6:7], v[98:99]
	v_add_f64 v[98:99], v[88:89], v[62:63]
	v_add_f64 v[88:89], v[54:55], v[58:59]
	v_fma_f64 v[96:97], -0.5, v[88:89], v[46:47]
	v_add_f64 v[48:49], v[48:49], -v[60:61]
	v_fma_f64 v[102:103], s[8:9], v[48:49], v[96:97]
	v_add_f64 v[52:53], v[52:53], -v[56:57]
	v_add_f64 v[56:57], v[50:51], -v[54:55]
	;; [unrolled: 1-line block ×3, first 2 shown]
	v_fmac_f64_e32 v[96:97], s[4:5], v[48:49]
	v_fmac_f64_e32 v[102:103], s[14:15], v[52:53]
	v_add_f64 v[56:57], v[56:57], v[60:61]
	v_fmac_f64_e32 v[96:97], s[2:3], v[52:53]
	v_fmac_f64_e32 v[102:103], s[6:7], v[56:57]
	;; [unrolled: 1-line block ×3, first 2 shown]
	v_add_f64 v[56:57], v[50:51], v[62:63]
	v_fmac_f64_e32 v[46:47], -0.5, v[56:57]
	v_fma_f64 v[122:123], s[4:5], v[52:53], v[46:47]
	v_add_f64 v[50:51], v[54:55], -v[50:51]
	v_add_f64 v[54:55], v[58:59], -v[62:63]
	v_fmac_f64_e32 v[46:47], s[8:9], v[52:53]
	v_fmac_f64_e32 v[122:123], s[14:15], v[48:49]
	v_add_f64 v[50:51], v[50:51], v[54:55]
	v_fmac_f64_e32 v[46:47], s[2:3], v[48:49]
	v_mul_f64 v[138:139], v[90:91], s[26:27]
	v_mul_f64 v[146:147], v[90:91], s[14:15]
	v_fmac_f64_e32 v[122:123], s[6:7], v[50:51]
	v_fmac_f64_e32 v[46:47], s[6:7], v[50:51]
	;; [unrolled: 1-line block ×4, first 2 shown]
	v_mul_f64 v[102:103], v[100:101], s[8:9]
	v_mul_f64 v[140:141], v[122:123], s[4:5]
	v_fmac_f64_e32 v[102:103], s[6:7], v[122:123]
	v_mul_f64 v[148:149], v[46:47], s[24:25]
	v_mul_f64 v[122:123], v[96:97], s[22:23]
	v_mul_f64 v[142:143], v[44:45], s[24:25]
	v_fmac_f64_e32 v[148:149], s[8:9], v[44:45]
	v_fmac_f64_e32 v[122:123], s[14:15], v[94:95]
	;; [unrolled: 1-line block ×3, first 2 shown]
	v_add_f64 v[50:51], v[136:137], v[102:103]
	v_add_f64 v[90:91], v[22:23], v[148:149]
	;; [unrolled: 1-line block ×3, first 2 shown]
	v_add_f64 v[46:47], v[136:137], -v[102:103]
	v_add_f64 v[102:103], v[22:23], -v[148:149]
	;; [unrolled: 1-line block ×3, first 2 shown]
	v_mul_lo_u16_e32 v120, 10, v188
	v_lshlrev_b32_e32 v243, 4, v120
	v_mul_lo_u16_sdwa v120, v188, s20 dst_sel:DWORD dst_unused:UNUSED_PAD src0_sel:BYTE_0 src1_sel:DWORD
	v_lshrrev_b16_e32 v178, 11, v120
	s_barrier
	ds_write_b128 v243, v[8:11]
	ds_write_b128 v243, v[4:7] offset:16
	ds_write_b128 v243, v[0:3] offset:32
	;; [unrolled: 1-line block ×9, first 2 shown]
	v_mul_u32_u24_e32 v0, 10, v175
	v_mul_lo_u16_e32 v120, 10, v178
	v_mul_f64 v[144:145], v[94:95], s[22:23]
	v_lshlrev_b32_e32 v0, 4, v0
	v_sub_u16_e32 v120, v188, v120
	v_fmac_f64_e32 v[140:141], s[6:7], v[100:101]
	v_fmac_f64_e32 v[144:145], s[2:3], v[96:97]
	buffer_store_dword v0, off, s[44:47], 0 offset:324 ; 4-byte Folded Spill
	ds_write_b128 v0, v[76:79]
	ds_write_b128 v0, v[72:75] offset:16
	ds_write_b128 v0, v[68:71] offset:32
	;; [unrolled: 1-line block ×9, first 2 shown]
	v_mul_u32_u24_e32 v0, 10, v176
	v_and_b32_e32 v179, 0xff, v120
	v_pk_mov_b32 v[120:121], s[10:11], s[10:11] op_sel:[0,1]
	v_add_f64 v[56:57], v[126:127], v[92:93]
	v_add_f64 v[52:53], v[130:131], v[138:139]
	;; [unrolled: 1-line block ×7, first 2 shown]
	v_add_f64 v[96:97], v[126:127], -v[92:93]
	v_add_f64 v[92:93], v[130:131], -v[138:139]
	;; [unrolled: 1-line block ×7, first 2 shown]
	v_lshlrev_b32_e32 v0, 4, v0
	v_mad_u64_u32 v[122:123], s[18:19], v179, s39, v[120:121]
	buffer_store_dword v0, off, s[44:47], 0 offset:320 ; 4-byte Folded Spill
	ds_write_b128 v0, v[56:59]
	ds_write_b128 v0, v[52:55] offset:16
	ds_write_b128 v0, v[48:51] offset:32
	;; [unrolled: 1-line block ×9, first 2 shown]
	s_waitcnt lgkmcnt(0)
	s_barrier
	ds_read_b128 v[16:19], v242
	ds_read_b128 v[116:119], v242 offset:7680
	ds_read_b128 v[112:115], v242 offset:15360
	;; [unrolled: 1-line block ×29, first 2 shown]
	global_load_dwordx4 v[126:129], v[122:123], off offset:48
	global_load_dwordx4 v[134:137], v[122:123], off offset:32
	;; [unrolled: 1-line block ×3, first 2 shown]
	global_load_dwordx4 v[142:145], v[122:123], off
	s_waitcnt vmcnt(0)
	buffer_store_dword v142, off, s[44:47], 0 offset:596 ; 4-byte Folded Spill
	s_nop 0
	buffer_store_dword v143, off, s[44:47], 0 offset:600 ; 4-byte Folded Spill
	buffer_store_dword v144, off, s[44:47], 0 offset:604 ; 4-byte Folded Spill
	buffer_store_dword v145, off, s[44:47], 0 offset:608 ; 4-byte Folded Spill
	buffer_store_dword v138, off, s[44:47], 0 offset:580 ; 4-byte Folded Spill
	s_nop 0
	buffer_store_dword v139, off, s[44:47], 0 offset:584 ; 4-byte Folded Spill
	buffer_store_dword v140, off, s[44:47], 0 offset:588 ; 4-byte Folded Spill
	buffer_store_dword v141, off, s[44:47], 0 offset:592 ; 4-byte Folded Spill
	;; [unrolled: 5-line block ×4, first 2 shown]
	s_movk_i32 s11, 0x89
	s_waitcnt lgkmcnt(14)
	v_mul_f64 v[124:125], v[118:119], v[144:145]
	v_fma_f64 v[130:131], v[116:117], v[142:143], -v[124:125]
	v_mul_f64 v[132:133], v[116:117], v[144:145]
	v_mul_f64 v[116:117], v[114:115], v[140:141]
	v_fma_f64 v[154:155], v[112:113], v[138:139], -v[116:117]
	v_mul_f64 v[156:157], v[112:113], v[140:141]
	;; [unrolled: 3-line block ×3, first 2 shown]
	v_mul_f64 v[108:109], v[106:107], v[128:129]
	v_mul_f64 v[160:161], v[104:105], v[128:129]
	v_fma_f64 v[158:159], v[104:105], v[126:127], -v[108:109]
	v_fmac_f64_e32 v[160:161], v[106:107], v[126:127]
	global_load_dwordx4 v[106:109], v[122:123], off offset:64
	s_waitcnt vmcnt(0)
	buffer_store_dword v106, off, s[44:47], 0 offset:612 ; 4-byte Folded Spill
	s_nop 0
	buffer_store_dword v107, off, s[44:47], 0 offset:616 ; 4-byte Folded Spill
	buffer_store_dword v108, off, s[44:47], 0 offset:620 ; 4-byte Folded Spill
	;; [unrolled: 1-line block ×3, first 2 shown]
	v_fmac_f64_e32 v[132:133], v[118:119], v[142:143]
	v_fmac_f64_e32 v[156:157], v[114:115], v[138:139]
	;; [unrolled: 1-line block ×3, first 2 shown]
	v_mul_f64 v[104:105], v[102:103], v[108:109]
	v_fma_f64 v[162:163], v[100:101], v[106:107], -v[104:105]
	v_mul_f64 v[164:165], v[100:101], v[108:109]
	v_mul_lo_u16_sdwa v100, v175, s20 dst_sel:DWORD dst_unused:UNUSED_PAD src0_sel:BYTE_0 src1_sel:DWORD
	v_lshrrev_b16_e32 v180, 11, v100
	v_mul_lo_u16_e32 v100, 10, v180
	v_sub_u16_e32 v100, v175, v100
	v_and_b32_e32 v181, 0xff, v100
	v_mad_u64_u32 v[100:101], s[18:19], v181, s39, v[120:121]
	v_fmac_f64_e32 v[164:165], v[102:103], v[106:107]
	global_load_dwordx4 v[104:107], v[100:101], off offset:48
	global_load_dwordx4 v[108:111], v[100:101], off offset:32
	;; [unrolled: 1-line block ×3, first 2 shown]
	global_load_dwordx4 v[116:119], v[100:101], off
	s_waitcnt vmcnt(0)
	buffer_store_dword v116, off, s[44:47], 0 offset:704 ; 4-byte Folded Spill
	s_nop 0
	buffer_store_dword v117, off, s[44:47], 0 offset:708 ; 4-byte Folded Spill
	buffer_store_dword v118, off, s[44:47], 0 offset:712 ; 4-byte Folded Spill
	buffer_store_dword v119, off, s[44:47], 0 offset:716 ; 4-byte Folded Spill
	buffer_store_dword v112, off, s[44:47], 0 offset:684 ; 4-byte Folded Spill
	s_nop 0
	buffer_store_dword v113, off, s[44:47], 0 offset:688 ; 4-byte Folded Spill
	buffer_store_dword v114, off, s[44:47], 0 offset:692 ; 4-byte Folded Spill
	buffer_store_dword v115, off, s[44:47], 0 offset:696 ; 4-byte Folded Spill
	;; [unrolled: 5-line block ×4, first 2 shown]
	s_mov_b32 s18, 0xcccd
	v_mul_f64 v[102:103], v[98:99], v[118:119]
	v_fma_f64 v[126:127], v[96:97], v[116:117], -v[102:103]
	v_mul_f64 v[128:129], v[96:97], v[118:119]
	v_mul_f64 v[96:97], v[94:95], v[114:115]
	v_fma_f64 v[138:139], v[92:93], v[112:113], -v[96:97]
	v_mul_f64 v[140:141], v[92:93], v[114:115]
	v_mul_f64 v[92:93], v[90:91], v[110:111]
	v_fma_f64 v[134:135], v[88:89], v[108:109], -v[92:93]
	v_mul_f64 v[136:137], v[88:89], v[110:111]
	v_mul_f64 v[88:89], v[86:87], v[106:107]
	v_mul_f64 v[144:145], v[84:85], v[106:107]
	v_fma_f64 v[142:143], v[84:85], v[104:105], -v[88:89]
	v_fmac_f64_e32 v[144:145], v[86:87], v[104:105]
	global_load_dwordx4 v[86:89], v[100:101], off offset:64
	v_fmac_f64_e32 v[128:129], v[98:99], v[116:117]
	v_fmac_f64_e32 v[140:141], v[94:95], v[112:113]
	;; [unrolled: 1-line block ×3, first 2 shown]
	s_waitcnt vmcnt(0)
	v_mul_f64 v[84:85], v[82:83], v[88:89]
	v_fma_f64 v[146:147], v[80:81], v[86:87], -v[84:85]
	v_mul_f64 v[150:151], v[80:81], v[88:89]
	v_mul_u32_u24_sdwa v80, v176, s18 dst_sel:DWORD dst_unused:UNUSED_PAD src0_sel:WORD_0 src1_sel:DWORD
	v_lshrrev_b32_e32 v182, 19, v80
	v_mul_lo_u16_e32 v80, 10, v182
	v_sub_u16_e32 v185, v176, v80
	v_mul_lo_u16_e32 v80, 0x50, v185
	v_add_co_u32_e32 v80, vcc, s10, v80
	v_accvgpr_write_b32 a187, v89
	v_addc_co_u32_e32 v81, vcc, 0, v177, vcc
	v_fmac_f64_e32 v[150:151], v[82:83], v[86:87]
	v_accvgpr_write_b32 a186, v88
	v_accvgpr_write_b32 a185, v87
	v_accvgpr_write_b32 a184, v86
	global_load_dwordx4 v[84:87], v[80:81], off offset:48
	global_load_dwordx4 v[88:91], v[80:81], off offset:32
	;; [unrolled: 1-line block ×3, first 2 shown]
	global_load_dwordx4 v[96:99], v[80:81], off
	s_waitcnt vmcnt(3)
	v_accvgpr_write_b32 a203, v87
	v_accvgpr_write_b32 a202, v86
	s_waitcnt vmcnt(1)
	v_mul_f64 v[124:125], v[72:73], v[94:95]
	s_waitcnt vmcnt(0)
	v_mul_f64 v[82:83], v[78:79], v[98:99]
	v_fma_f64 v[122:123], v[76:77], v[96:97], -v[82:83]
	global_load_dwordx4 v[80:83], v[80:81], off offset:64
	v_mul_f64 v[76:77], v[76:77], v[98:99]
	v_fmac_f64_e32 v[76:77], v[78:79], v[96:97]
	v_mul_f64 v[78:79], v[74:75], v[94:95]
	v_fma_f64 v[78:79], v[72:73], v[92:93], -v[78:79]
	v_mul_f64 v[72:73], v[70:71], v[90:91]
	v_fma_f64 v[72:73], v[68:69], v[88:89], -v[72:73]
	v_mul_f64 v[68:69], v[68:69], v[90:91]
	v_fmac_f64_e32 v[68:69], v[70:71], v[88:89]
	s_waitcnt lgkmcnt(13)
	v_mul_f64 v[70:71], v[66:67], v[86:87]
	v_fmac_f64_e32 v[124:125], v[74:75], v[92:93]
	v_fma_f64 v[70:71], v[64:65], v[84:85], -v[70:71]
	v_mul_f64 v[74:75], v[64:65], v[86:87]
	v_accvgpr_write_b32 a231, v99
	v_accvgpr_write_b32 a223, v95
	;; [unrolled: 1-line block ×8, first 2 shown]
	v_fmac_f64_e32 v[74:75], v[66:67], v[84:85]
	v_accvgpr_write_b32 a201, v85
	v_accvgpr_write_b32 a200, v84
	;; [unrolled: 1-line block ×6, first 2 shown]
	s_waitcnt vmcnt(0) lgkmcnt(12)
	v_mul_f64 v[64:65], v[62:63], v[82:83]
	v_fma_f64 v[64:65], v[60:61], v[80:81], -v[64:65]
	v_mul_f64 v[60:61], v[60:61], v[82:83]
	v_fmac_f64_e32 v[60:61], v[62:63], v[80:81]
	v_mul_u32_u24_sdwa v62, v169, s18 dst_sel:DWORD dst_unused:UNUSED_PAD src0_sel:WORD_0 src1_sel:DWORD
	v_lshrrev_b32_e32 v183, 19, v62
	v_mul_lo_u16_e32 v62, 10, v183
	v_sub_u16_e32 v186, v169, v62
	v_mul_lo_u16_e32 v62, 0x50, v186
	v_add_co_u32_e32 v62, vcc, s10, v62
	v_accvgpr_write_b32 a191, v83
	v_addc_co_u32_e32 v63, vcc, 0, v177, vcc
	v_accvgpr_write_b32 a190, v82
	v_accvgpr_write_b32 a189, v81
	;; [unrolled: 1-line block ×3, first 2 shown]
	global_load_dwordx4 v[84:87], v[62:63], off offset:48
	global_load_dwordx4 v[80:83], v[62:63], off offset:32
	global_load_dwordx4 v[94:97], v[62:63], off offset:16
	global_load_dwordx4 v[98:101], v[62:63], off
	s_mov_b32 s18, 0xe8584caa
	s_mov_b32 s19, 0x3febb67a
	;; [unrolled: 1-line block ×3, first 2 shown]
	s_waitcnt vmcnt(3)
	v_accvgpr_write_b32 a179, v87
	v_accvgpr_write_b32 a178, v86
	;; [unrolled: 1-line block ×3, first 2 shown]
	s_waitcnt vmcnt(0) lgkmcnt(10)
	v_mul_f64 v[66:67], v[58:59], v[100:101]
	v_mul_f64 v[92:93], v[56:57], v[100:101]
	v_accvgpr_write_b32 a227, v101
	v_fma_f64 v[90:91], v[56:57], v[98:99], -v[66:67]
	v_fmac_f64_e32 v[92:93], v[58:59], v[98:99]
	v_accvgpr_write_b32 a226, v100
	v_accvgpr_write_b32 a225, v99
	;; [unrolled: 1-line block ×3, first 2 shown]
	v_pk_mov_b32 v[98:99], v[96:97], v[96:97] op_sel:[0,1]
	v_pk_mov_b32 v[96:97], v[94:95], v[94:95] op_sel:[0,1]
	s_waitcnt lgkmcnt(9)
	v_mul_f64 v[56:57], v[54:55], v[98:99]
	v_mul_f64 v[94:95], v[52:53], v[98:99]
	v_fma_f64 v[88:89], v[52:53], v[96:97], -v[56:57]
	v_fmac_f64_e32 v[94:95], v[54:55], v[96:97]
	v_pk_mov_b32 v[54:55], v[80:81], v[80:81] op_sel:[0,1]
	v_pk_mov_b32 v[56:57], v[82:83], v[82:83] op_sel:[0,1]
	v_accvgpr_write_b32 a215, v99
	s_waitcnt lgkmcnt(8)
	v_mul_f64 v[52:53], v[50:51], v[56:57]
	v_accvgpr_write_b32 a214, v98
	v_accvgpr_write_b32 a213, v97
	;; [unrolled: 1-line block ×3, first 2 shown]
	v_fma_f64 v[80:81], v[48:49], v[54:55], -v[52:53]
	v_mul_f64 v[82:83], v[48:49], v[56:57]
	s_waitcnt lgkmcnt(7)
	v_mul_f64 v[48:49], v[46:47], v[86:87]
	v_mul_f64 v[98:99], v[44:45], v[86:87]
	v_fma_f64 v[96:97], v[44:45], v[84:85], -v[48:49]
	v_fmac_f64_e32 v[98:99], v[46:47], v[84:85]
	global_load_dwordx4 v[46:49], v[62:63], off offset:64
	v_accvgpr_write_b32 a176, v84
	v_accvgpr_write_b32 a195, v57
	v_fmac_f64_e32 v[82:83], v[50:51], v[54:55]
	v_accvgpr_write_b32 a194, v56
	v_accvgpr_write_b32 a193, v55
	v_accvgpr_write_b32 a192, v54
	s_waitcnt vmcnt(0) lgkmcnt(6)
	v_mul_f64 v[44:45], v[42:43], v[48:49]
	v_fma_f64 v[84:85], v[40:41], v[46:47], -v[44:45]
	v_mul_f64 v[86:87], v[40:41], v[48:49]
	v_mov_b32_e32 v41, v184
	v_mul_u32_u24_e32 v40, 0xcccd, v41
	v_lshrrev_b32_e32 v184, 19, v40
	v_mul_lo_u16_e32 v40, 10, v184
	v_sub_u16_e32 v187, v41, v40
	v_mul_lo_u16_e32 v40, 0x50, v187
	v_add_co_u32_e32 v40, vcc, s10, v40
	v_accvgpr_write_b32 a171, v49
	v_mov_b32_e32 v191, v41
	v_addc_co_u32_e32 v41, vcc, 0, v177, vcc
	v_fmac_f64_e32 v[86:87], v[42:43], v[46:47]
	v_accvgpr_write_b32 a170, v48
	v_accvgpr_write_b32 a169, v47
	;; [unrolled: 1-line block ×3, first 2 shown]
	global_load_dwordx4 v[44:47], v[40:41], off offset:48
	global_load_dwordx4 v[48:51], v[40:41], off offset:32
	;; [unrolled: 1-line block ×3, first 2 shown]
	global_load_dwordx4 v[56:59], v[40:41], off
	v_cmp_gt_u16_e32 vcc, 60, v188
	s_waitcnt vmcnt(3) lgkmcnt(1)
	v_mul_f64 v[118:119], v[24:25], v[46:47]
	s_waitcnt vmcnt(2)
	v_mul_f64 v[102:103], v[28:29], v[50:51]
	s_waitcnt vmcnt(1)
	;; [unrolled: 2-line block ×3, first 2 shown]
	v_mul_f64 v[42:43], v[38:39], v[58:59]
	v_fma_f64 v[110:111], v[36:37], v[56:57], -v[42:43]
	v_mul_f64 v[112:113], v[36:37], v[58:59]
	v_mul_f64 v[36:37], v[34:35], v[54:55]
	v_fma_f64 v[108:109], v[32:33], v[52:53], -v[36:37]
	v_mul_f64 v[32:33], v[30:31], v[50:51]
	v_fma_f64 v[100:101], v[28:29], v[48:49], -v[32:33]
	;; [unrolled: 2-line block ×3, first 2 shown]
	v_fmac_f64_e32 v[118:119], v[26:27], v[44:45]
	global_load_dwordx4 v[26:29], v[40:41], off offset:64
	v_fmac_f64_e32 v[114:115], v[34:35], v[52:53]
	v_fmac_f64_e32 v[112:113], v[38:39], v[56:57]
	;; [unrolled: 1-line block ×3, first 2 shown]
	v_accvgpr_write_b32 a199, v51
	v_accvgpr_write_b32 a183, v47
	;; [unrolled: 1-line block ×16, first 2 shown]
	s_waitcnt lgkmcnt(0)
	s_barrier
	s_waitcnt vmcnt(0)
	v_mul_f64 v[24:25], v[22:23], v[28:29]
	v_fma_f64 v[104:105], v[20:21], v[26:27], -v[24:25]
	v_mul_f64 v[106:107], v[20:21], v[28:29]
	v_add_f64 v[20:21], v[16:17], v[154:155]
	v_add_f64 v[32:33], v[20:21], v[158:159]
	;; [unrolled: 1-line block ×3, first 2 shown]
	v_fmac_f64_e32 v[16:17], -0.5, v[20:21]
	v_add_f64 v[20:21], v[156:157], -v[160:161]
	v_fma_f64 v[34:35], s[18:19], v[20:21], v[16:17]
	v_fmac_f64_e32 v[16:17], s[20:21], v[20:21]
	v_add_f64 v[20:21], v[18:19], v[156:157]
	v_add_f64 v[38:39], v[20:21], v[160:161]
	;; [unrolled: 1-line block ×3, first 2 shown]
	v_fmac_f64_e32 v[18:19], -0.5, v[20:21]
	v_add_f64 v[20:21], v[154:155], -v[158:159]
	v_fma_f64 v[40:41], s[20:21], v[20:21], v[18:19]
	v_fmac_f64_e32 v[18:19], s[18:19], v[20:21]
	v_add_f64 v[20:21], v[130:131], v[148:149]
	v_add_f64 v[36:37], v[20:21], v[162:163]
	;; [unrolled: 1-line block ×3, first 2 shown]
	v_fmac_f64_e32 v[130:131], -0.5, v[20:21]
	v_add_f64 v[20:21], v[152:153], -v[164:165]
	v_fmac_f64_e32 v[106:107], v[22:23], v[26:27]
	v_fma_f64 v[22:23], s[18:19], v[20:21], v[130:131]
	v_fmac_f64_e32 v[130:131], s[20:21], v[20:21]
	v_add_f64 v[20:21], v[132:133], v[152:153]
	v_add_f64 v[42:43], v[20:21], v[164:165]
	;; [unrolled: 1-line block ×3, first 2 shown]
	v_fmac_f64_e32 v[132:133], -0.5, v[20:21]
	v_add_f64 v[20:21], v[148:149], -v[162:163]
	v_fma_f64 v[30:31], s[20:21], v[20:21], v[132:133]
	v_mul_f64 v[44:45], v[30:31], s[18:19]
	v_mul_f64 v[48:49], v[22:23], s[20:21]
	v_fmac_f64_e32 v[44:45], 0.5, v[22:23]
	v_fmac_f64_e32 v[48:49], 0.5, v[30:31]
	v_fmac_f64_e32 v[132:133], s[18:19], v[20:21]
	v_add_f64 v[24:25], v[32:33], v[36:37]
	v_add_f64 v[20:21], v[34:35], v[44:45]
	;; [unrolled: 1-line block ×3, first 2 shown]
	v_add_f64 v[36:37], v[32:33], -v[36:37]
	v_add_f64 v[32:33], v[34:35], -v[44:45]
	;; [unrolled: 1-line block ×3, first 2 shown]
	v_add_f64 v[40:41], v[12:13], v[138:139]
	v_add_f64 v[52:53], v[40:41], v[142:143]
	;; [unrolled: 1-line block ×3, first 2 shown]
	v_fmac_f64_e32 v[12:13], -0.5, v[40:41]
	v_add_f64 v[40:41], v[140:141], -v[144:145]
	v_fma_f64 v[54:55], s[18:19], v[40:41], v[12:13]
	v_fmac_f64_e32 v[12:13], s[20:21], v[40:41]
	v_add_f64 v[40:41], v[14:15], v[140:141]
	v_add_f64 v[58:59], v[40:41], v[144:145]
	;; [unrolled: 1-line block ×3, first 2 shown]
	v_fmac_f64_e32 v[14:15], -0.5, v[40:41]
	v_add_f64 v[40:41], v[138:139], -v[142:143]
	v_fma_f64 v[62:63], s[20:21], v[40:41], v[14:15]
	v_fmac_f64_e32 v[14:15], s[18:19], v[40:41]
	v_add_f64 v[40:41], v[126:127], v[134:135]
	v_add_f64 v[56:57], v[40:41], v[146:147]
	;; [unrolled: 1-line block ×3, first 2 shown]
	v_accvgpr_write_b32 a175, v29
	v_fmac_f64_e32 v[126:127], -0.5, v[40:41]
	v_add_f64 v[40:41], v[136:137], -v[150:151]
	v_accvgpr_write_b32 a174, v28
	v_accvgpr_write_b32 a173, v27
	;; [unrolled: 1-line block ×3, first 2 shown]
	v_add_f64 v[26:27], v[38:39], v[42:43]
	v_add_f64 v[38:39], v[38:39], -v[42:43]
	v_fma_f64 v[42:43], s[18:19], v[40:41], v[126:127]
	v_fmac_f64_e32 v[126:127], s[20:21], v[40:41]
	v_add_f64 v[40:41], v[128:129], v[136:137]
	v_mul_f64 v[50:51], v[132:133], -0.5
	v_add_f64 v[66:67], v[40:41], v[150:151]
	v_add_f64 v[40:41], v[136:137], v[150:151]
	v_fmac_f64_e32 v[50:51], s[20:21], v[130:131]
	v_fmac_f64_e32 v[128:129], -0.5, v[40:41]
	v_add_f64 v[40:41], v[134:135], -v[146:147]
	v_add_f64 v[30:31], v[18:19], v[50:51]
	v_add_f64 v[18:19], v[18:19], -v[50:51]
	v_fma_f64 v[50:51], s[20:21], v[40:41], v[128:129]
	v_mul_f64 v[46:47], v[130:131], -0.5
	v_mul_f64 v[130:131], v[50:51], s[18:19]
	v_mul_f64 v[134:135], v[42:43], s[20:21]
	v_fmac_f64_e32 v[46:47], s[18:19], v[132:133]
	v_fmac_f64_e32 v[128:129], s[18:19], v[40:41]
	v_fmac_f64_e32 v[130:131], 0.5, v[42:43]
	v_mul_f64 v[132:133], v[126:127], -0.5
	v_fmac_f64_e32 v[134:135], 0.5, v[50:51]
	v_add_f64 v[44:45], v[52:53], v[56:57]
	v_add_f64 v[40:41], v[54:55], v[130:131]
	v_fmac_f64_e32 v[132:133], s[18:19], v[128:129]
	v_add_f64 v[42:43], v[62:63], v[134:135]
	v_mul_f64 v[128:129], v[128:129], -0.5
	v_add_f64 v[56:57], v[52:53], -v[56:57]
	v_add_f64 v[52:53], v[54:55], -v[130:131]
	;; [unrolled: 1-line block ×3, first 2 shown]
	v_add_f64 v[62:63], v[8:9], v[78:79]
	v_fmac_f64_e32 v[128:129], s[20:21], v[126:127]
	v_add_f64 v[126:127], v[62:63], v[70:71]
	v_add_f64 v[62:63], v[78:79], v[70:71]
	v_fmac_f64_e32 v[8:9], -0.5, v[62:63]
	v_add_f64 v[62:63], v[124:125], -v[74:75]
	v_add_f64 v[50:51], v[14:15], v[128:129]
	v_add_f64 v[14:15], v[14:15], -v[128:129]
	v_fma_f64 v[128:129], s[18:19], v[62:63], v[8:9]
	v_fmac_f64_e32 v[8:9], s[20:21], v[62:63]
	v_add_f64 v[62:63], v[10:11], v[124:125]
	v_add_f64 v[130:131], v[62:63], v[74:75]
	v_add_f64 v[62:63], v[124:125], v[74:75]
	v_fmac_f64_e32 v[10:11], -0.5, v[62:63]
	v_add_f64 v[62:63], v[78:79], -v[70:71]
	v_fma_f64 v[74:75], s[20:21], v[62:63], v[10:11]
	v_fmac_f64_e32 v[10:11], s[18:19], v[62:63]
	v_add_f64 v[62:63], v[122:123], v[72:73]
	v_add_f64 v[78:79], v[62:63], v[64:65]
	v_add_f64 v[62:63], v[72:73], v[64:65]
	v_fmac_f64_e32 v[122:123], -0.5, v[62:63]
	;; [unrolled: 7-line block ×3, first 2 shown]
	v_add_f64 v[60:61], v[72:73], -v[64:65]
	v_add_f64 v[48:49], v[12:13], v[132:133]
	v_add_f64 v[12:13], v[12:13], -v[132:133]
	v_fma_f64 v[62:63], s[20:21], v[60:61], v[76:77]
	v_fmac_f64_e32 v[76:77], s[18:19], v[60:61]
	v_mul_f64 v[132:133], v[122:123], -0.5
	v_add_f64 v[28:29], v[16:17], v[46:47]
	v_add_f64 v[16:17], v[16:17], -v[46:47]
	v_add_f64 v[46:47], v[58:59], v[66:67]
	v_add_f64 v[58:59], v[58:59], -v[66:67]
	v_add_f64 v[64:65], v[126:127], v[78:79]
	v_fmac_f64_e32 v[132:133], s[18:19], v[76:77]
	v_add_f64 v[66:67], v[130:131], v[124:125]
	v_mul_f64 v[136:137], v[76:77], -0.5
	v_add_f64 v[76:77], v[126:127], -v[78:79]
	v_add_f64 v[78:79], v[130:131], -v[124:125]
	v_add_f64 v[124:125], v[88:89], v[96:97]
	v_fmac_f64_e32 v[136:137], s[20:21], v[122:123]
	v_add_f64 v[122:123], v[4:5], v[88:89]
	v_fmac_f64_e32 v[4:5], -0.5, v[124:125]
	v_add_f64 v[124:125], v[94:95], -v[98:99]
	v_fma_f64 v[126:127], s[18:19], v[124:125], v[4:5]
	v_fmac_f64_e32 v[4:5], s[20:21], v[124:125]
	v_add_f64 v[124:125], v[6:7], v[94:95]
	v_add_f64 v[94:95], v[94:95], v[98:99]
	v_fmac_f64_e32 v[6:7], -0.5, v[94:95]
	v_add_f64 v[88:89], v[88:89], -v[96:97]
	v_fma_f64 v[94:95], s[20:21], v[88:89], v[6:7]
	v_fmac_f64_e32 v[6:7], s[18:19], v[88:89]
	v_add_f64 v[88:89], v[90:91], v[80:81]
	v_add_f64 v[122:123], v[122:123], v[96:97]
	;; [unrolled: 1-line block ×4, first 2 shown]
	v_fmac_f64_e32 v[90:91], -0.5, v[88:89]
	v_add_f64 v[88:89], v[82:83], -v[86:87]
	v_add_f64 v[124:125], v[124:125], v[98:99]
	v_fma_f64 v[98:99], s[18:19], v[88:89], v[90:91]
	v_fmac_f64_e32 v[90:91], s[20:21], v[88:89]
	v_add_f64 v[88:89], v[92:93], v[82:83]
	v_add_f64 v[82:83], v[82:83], v[86:87]
	v_mul_f64 v[72:73], v[62:63], s[18:19]
	v_fmac_f64_e32 v[92:93], -0.5, v[82:83]
	v_add_f64 v[80:81], v[80:81], -v[84:85]
	v_fmac_f64_e32 v[72:73], 0.5, v[70:71]
	v_mul_f64 v[134:135], v[70:71], s[20:21]
	v_fma_f64 v[82:83], s[20:21], v[80:81], v[92:93]
	v_add_f64 v[60:61], v[128:129], v[72:73]
	v_fmac_f64_e32 v[134:135], 0.5, v[62:63]
	v_add_f64 v[72:73], v[128:129], -v[72:73]
	v_add_f64 v[128:129], v[88:89], v[86:87]
	v_mul_f64 v[130:131], v[82:83], s[18:19]
	v_add_f64 v[62:63], v[74:75], v[134:135]
	v_add_f64 v[74:75], v[74:75], -v[134:135]
	v_fmac_f64_e32 v[130:131], 0.5, v[98:99]
	v_add_f64 v[86:87], v[124:125], v[128:129]
	v_mul_f64 v[134:135], v[98:99], s[20:21]
	v_add_f64 v[98:99], v[124:125], -v[128:129]
	v_add_f64 v[124:125], v[108:109], v[116:117]
	v_add_f64 v[68:69], v[8:9], v[132:133]
	v_add_f64 v[8:9], v[8:9], -v[132:133]
	v_fmac_f64_e32 v[92:93], s[18:19], v[80:81]
	v_add_f64 v[84:85], v[122:123], v[96:97]
	v_mul_f64 v[132:133], v[90:91], -0.5
	v_add_f64 v[96:97], v[122:123], -v[96:97]
	v_add_f64 v[122:123], v[0:1], v[108:109]
	v_fmac_f64_e32 v[0:1], -0.5, v[124:125]
	v_add_f64 v[124:125], v[114:115], -v[118:119]
	v_add_f64 v[70:71], v[10:11], v[136:137]
	v_add_f64 v[10:11], v[10:11], -v[136:137]
	v_add_f64 v[80:81], v[126:127], v[130:131]
	v_fmac_f64_e32 v[132:133], s[18:19], v[92:93]
	v_mul_f64 v[136:137], v[92:93], -0.5
	v_add_f64 v[92:93], v[126:127], -v[130:131]
	v_fma_f64 v[126:127], s[18:19], v[124:125], v[0:1]
	v_fmac_f64_e32 v[0:1], s[20:21], v[124:125]
	v_add_f64 v[124:125], v[2:3], v[114:115]
	v_add_f64 v[114:115], v[114:115], v[118:119]
	v_fmac_f64_e32 v[2:3], -0.5, v[114:115]
	v_add_f64 v[108:109], v[108:109], -v[116:117]
	v_fma_f64 v[114:115], s[20:21], v[108:109], v[2:3]
	v_fmac_f64_e32 v[2:3], s[18:19], v[108:109]
	v_add_f64 v[108:109], v[110:111], v[100:101]
	v_add_f64 v[122:123], v[122:123], v[116:117]
	;; [unrolled: 1-line block ×4, first 2 shown]
	v_add_f64 v[100:101], v[100:101], -v[104:105]
	v_add_f64 v[104:105], v[122:123], v[116:117]
	v_add_f64 v[116:117], v[122:123], -v[116:117]
	v_mul_u32_u24_e32 v122, 60, v178
	v_add_lshl_u32 v122, v122, v179, 4
	buffer_store_dword v122, off, s[44:47], 0 offset:456 ; 4-byte Folded Spill
	ds_write_b128 v122, v[24:27]
	ds_write_b128 v122, v[20:23] offset:160
	ds_write_b128 v122, v[28:31] offset:320
	;; [unrolled: 1-line block ×5, first 2 shown]
	v_mul_u32_u24_e32 v16, 60, v180
	v_fmac_f64_e32 v[110:111], -0.5, v[108:109]
	v_add_f64 v[108:109], v[102:103], -v[106:107]
	v_add_lshl_u32 v16, v16, v181, 4
	v_add_f64 v[124:125], v[124:125], v[118:119]
	v_fma_f64 v[118:119], s[18:19], v[108:109], v[110:111]
	v_fmac_f64_e32 v[110:111], s[20:21], v[108:109]
	v_add_f64 v[108:109], v[112:113], v[102:103]
	v_add_f64 v[102:103], v[102:103], v[106:107]
	buffer_store_dword v16, off, s[44:47], 0 offset:452 ; 4-byte Folded Spill
	ds_write_b128 v16, v[44:47]
	ds_write_b128 v16, v[40:43] offset:160
	ds_write_b128 v16, v[48:51] offset:320
	;; [unrolled: 1-line block ×5, first 2 shown]
	v_mad_legacy_u16 v12, v182, 60, v185
	v_fmac_f64_e32 v[112:113], -0.5, v[102:103]
	v_lshlrev_b32_e32 v12, 4, v12
	v_subrev_u32_e32 v122, 60, v188
	v_fmac_f64_e32 v[134:135], 0.5, v[82:83]
	v_fmac_f64_e32 v[136:137], s[20:21], v[90:91]
	v_fma_f64 v[102:103], s[20:21], v[100:101], v[112:113]
	v_fmac_f64_e32 v[112:113], s[18:19], v[100:101]
	buffer_store_dword v12, off, s[44:47], 0 offset:400 ; 4-byte Folded Spill
	ds_write_b128 v12, v[64:67]
	ds_write_b128 v12, v[60:63] offset:160
	ds_write_b128 v12, v[68:71] offset:320
	;; [unrolled: 1-line block ×5, first 2 shown]
	v_mad_legacy_u16 v8, v183, 60, v186
	v_cndmask_b32_e32 v164, v122, v188, vcc
	v_add_f64 v[88:89], v[4:5], v[132:133]
	v_add_f64 v[82:83], v[94:95], v[134:135]
	;; [unrolled: 1-line block ×3, first 2 shown]
	v_add_f64 v[4:5], v[4:5], -v[132:133]
	v_add_f64 v[94:95], v[94:95], -v[134:135]
	;; [unrolled: 1-line block ×3, first 2 shown]
	v_mul_f64 v[130:131], v[102:103], s[18:19]
	v_mul_f64 v[132:133], v[110:111], -0.5
	v_mul_f64 v[134:135], v[118:119], s[20:21]
	v_mul_f64 v[136:137], v[112:113], -0.5
	v_lshlrev_b32_e32 v8, 4, v8
	v_mul_i32_i24_e32 v122, 0x50, v164
	v_add_f64 v[128:129], v[108:109], v[106:107]
	v_fmac_f64_e32 v[130:131], 0.5, v[118:119]
	v_fmac_f64_e32 v[132:133], s[18:19], v[112:113]
	v_fmac_f64_e32 v[134:135], 0.5, v[102:103]
	v_fmac_f64_e32 v[136:137], s[20:21], v[110:111]
	buffer_store_dword v8, off, s[44:47], 0 offset:380 ; 4-byte Folded Spill
	ds_write_b128 v8, v[84:87]
	ds_write_b128 v8, v[80:83] offset:160
	ds_write_b128 v8, v[88:91] offset:320
	;; [unrolled: 1-line block ×5, first 2 shown]
	v_mad_legacy_u16 v4, v184, 60, v187
	v_mul_hi_i32_i24_e32 v123, 0x50, v164
	v_add_co_u32_e32 v122, vcc, s10, v122
	v_add_f64 v[100:101], v[126:127], v[130:131]
	v_add_f64 v[108:109], v[0:1], v[132:133]
	;; [unrolled: 1-line block ×5, first 2 shown]
	v_add_f64 v[112:113], v[126:127], -v[130:131]
	v_add_f64 v[0:1], v[0:1], -v[132:133]
	;; [unrolled: 1-line block ×5, first 2 shown]
	v_lshlrev_b32_e32 v4, 4, v4
	v_addc_co_u32_e32 v123, vcc, v177, v123, vcc
	buffer_store_dword v4, off, s[44:47], 0 offset:360 ; 4-byte Folded Spill
	ds_write_b128 v4, v[104:107]
	ds_write_b128 v4, v[100:103] offset:160
	ds_write_b128 v4, v[108:111] offset:320
	;; [unrolled: 1-line block ×5, first 2 shown]
	s_waitcnt lgkmcnt(0)
	s_barrier
	ds_read_b128 v[16:19], v242
	ds_read_b128 v[116:119], v242 offset:7680
	ds_read_b128 v[112:115], v242 offset:15360
	;; [unrolled: 1-line block ×29, first 2 shown]
	global_load_dwordx4 v[126:129], v[122:123], off offset:848
	global_load_dwordx4 v[130:133], v[122:123], off offset:832
	global_load_dwordx4 v[134:137], v[122:123], off offset:816
	global_load_dwordx4 v[138:141], v[122:123], off offset:800
	s_waitcnt vmcnt(3) lgkmcnt(14)
	v_mul_f64 v[162:163], v[104:105], v[128:129]
	s_waitcnt vmcnt(2)
	v_mul_f64 v[150:151], v[108:109], v[132:133]
	s_waitcnt vmcnt(1)
	;; [unrolled: 2-line block ×3, first 2 shown]
	v_mul_f64 v[124:125], v[118:119], v[140:141]
	v_fma_f64 v[144:145], v[116:117], v[138:139], -v[124:125]
	v_mul_f64 v[146:147], v[116:117], v[140:141]
	v_mul_f64 v[116:117], v[114:115], v[136:137]
	v_fma_f64 v[152:153], v[112:113], v[134:135], -v[116:117]
	v_mul_f64 v[112:113], v[110:111], v[132:133]
	v_fma_f64 v[148:149], v[108:109], v[130:131], -v[112:113]
	;; [unrolled: 2-line block ×3, first 2 shown]
	v_fmac_f64_e32 v[162:163], v[106:107], v[126:127]
	global_load_dwordx4 v[106:109], v[122:123], off offset:864
	v_fmac_f64_e32 v[146:147], v[118:119], v[138:139]
	v_fmac_f64_e32 v[154:155], v[114:115], v[134:135]
	;; [unrolled: 1-line block ×3, first 2 shown]
	v_accvgpr_write_b32 a72, v126
	v_accvgpr_write_b32 a239, v141
	;; [unrolled: 1-line block ×16, first 2 shown]
	s_waitcnt vmcnt(0)
	v_mul_f64 v[104:105], v[102:103], v[108:109]
	v_fma_f64 v[156:157], v[100:101], v[106:107], -v[104:105]
	v_mul_f64 v[158:159], v[100:101], v[108:109]
	v_mul_lo_u16_sdwa v100, v175, s11 dst_sel:DWORD dst_unused:UNUSED_PAD src0_sel:BYTE_0 src1_sel:DWORD
	v_lshrrev_b16_e32 v178, 13, v100
	v_mul_lo_u16_e32 v100, 60, v178
	v_sub_u16_e32 v100, v175, v100
	v_and_b32_e32 v182, 0xff, v100
	v_accvgpr_write_b32 a104, v106
	v_mad_u64_u32 v[100:101], s[40:41], v182, s39, v[120:121]
	v_fmac_f64_e32 v[158:159], v[102:103], v[106:107]
	v_accvgpr_write_b32 a105, v107
	v_accvgpr_write_b32 a106, v108
	;; [unrolled: 1-line block ×3, first 2 shown]
	global_load_dwordx4 v[104:107], v[100:101], off offset:848
	global_load_dwordx4 v[108:111], v[100:101], off offset:832
	;; [unrolled: 1-line block ×4, first 2 shown]
	s_mov_b32 s11, 0x8889
	s_waitcnt vmcnt(3)
	v_mul_f64 v[142:143], v[84:85], v[106:107]
	s_waitcnt vmcnt(2)
	v_mul_f64 v[130:131], v[88:89], v[110:111]
	;; [unrolled: 2-line block ×4, first 2 shown]
	v_fma_f64 v[124:125], v[96:97], v[116:117], -v[102:103]
	v_mul_f64 v[126:127], v[96:97], v[118:119]
	v_mul_f64 v[96:97], v[94:95], v[114:115]
	v_fma_f64 v[136:137], v[92:93], v[112:113], -v[96:97]
	v_mul_f64 v[92:93], v[90:91], v[110:111]
	v_fma_f64 v[128:129], v[88:89], v[108:109], -v[92:93]
	;; [unrolled: 2-line block ×3, first 2 shown]
	v_fmac_f64_e32 v[142:143], v[86:87], v[104:105]
	global_load_dwordx4 v[86:89], v[100:101], off offset:864
	v_fmac_f64_e32 v[126:127], v[98:99], v[116:117]
	v_fmac_f64_e32 v[138:139], v[94:95], v[112:113]
	;; [unrolled: 1-line block ×3, first 2 shown]
	v_accvgpr_write_b32 a68, v112
	v_accvgpr_write_b32 a90, v108
	;; [unrolled: 1-line block ×16, first 2 shown]
	s_waitcnt vmcnt(0)
	v_mul_f64 v[84:85], v[82:83], v[88:89]
	v_fma_f64 v[132:133], v[80:81], v[86:87], -v[84:85]
	v_mul_f64 v[134:135], v[80:81], v[88:89]
	v_mul_u32_u24_sdwa v80, v176, s11 dst_sel:DWORD dst_unused:UNUSED_PAD src0_sel:WORD_0 src1_sel:DWORD
	v_lshrrev_b32_e32 v165, 21, v80
	v_mul_lo_u16_e32 v80, 60, v165
	v_sub_u16_e32 v179, v176, v80
	v_mul_lo_u16_e32 v80, 0x50, v179
	v_add_co_u32_e32 v80, vcc, s10, v80
	v_accvgpr_write_b32 a153, v89
	v_addc_co_u32_e32 v81, vcc, 0, v177, vcc
	v_fmac_f64_e32 v[134:135], v[82:83], v[86:87]
	v_accvgpr_write_b32 a152, v88
	v_accvgpr_write_b32 a151, v87
	;; [unrolled: 1-line block ×3, first 2 shown]
	global_load_dwordx4 v[84:87], v[80:81], off offset:848
	global_load_dwordx4 v[88:91], v[80:81], off offset:832
	;; [unrolled: 1-line block ×4, first 2 shown]
	s_waitcnt vmcnt(3)
	v_accvgpr_write_b32 a149, v87
	v_accvgpr_write_b32 a148, v86
	s_waitcnt vmcnt(1)
	v_mul_f64 v[122:123], v[72:73], v[94:95]
	s_waitcnt vmcnt(0)
	v_mul_f64 v[82:83], v[78:79], v[98:99]
	v_fma_f64 v[120:121], v[76:77], v[96:97], -v[82:83]
	global_load_dwordx4 v[80:83], v[80:81], off offset:864
	v_mul_f64 v[76:77], v[76:77], v[98:99]
	v_fmac_f64_e32 v[76:77], v[78:79], v[96:97]
	v_mul_f64 v[78:79], v[74:75], v[94:95]
	v_fma_f64 v[78:79], v[72:73], v[92:93], -v[78:79]
	v_mul_f64 v[72:73], v[70:71], v[90:91]
	v_fma_f64 v[72:73], v[68:69], v[88:89], -v[72:73]
	v_mul_f64 v[68:69], v[68:69], v[90:91]
	v_fmac_f64_e32 v[68:69], v[70:71], v[88:89]
	s_waitcnt lgkmcnt(13)
	v_mul_f64 v[70:71], v[66:67], v[86:87]
	v_fmac_f64_e32 v[122:123], v[74:75], v[92:93]
	v_fma_f64 v[70:71], v[64:65], v[84:85], -v[70:71]
	v_mul_f64 v[74:75], v[64:65], v[86:87]
	v_accvgpr_write_b32 a64, v96
	v_accvgpr_write_b32 a86, v92
	;; [unrolled: 1-line block ×8, first 2 shown]
	v_fmac_f64_e32 v[74:75], v[66:67], v[84:85]
	v_accvgpr_write_b32 a147, v85
	v_accvgpr_write_b32 a146, v84
	;; [unrolled: 1-line block ×6, first 2 shown]
	s_waitcnt vmcnt(0) lgkmcnt(12)
	v_mul_f64 v[64:65], v[62:63], v[82:83]
	v_fma_f64 v[64:65], v[60:61], v[80:81], -v[64:65]
	v_mul_f64 v[60:61], v[60:61], v[82:83]
	v_fmac_f64_e32 v[60:61], v[62:63], v[80:81]
	v_mul_u32_u24_sdwa v62, v169, s11 dst_sel:DWORD dst_unused:UNUSED_PAD src0_sel:WORD_0 src1_sel:DWORD
	v_lshrrev_b32_e32 v175, 21, v62
	v_mul_lo_u16_e32 v62, 60, v175
	v_sub_u16_e32 v180, v169, v62
	v_mul_lo_u16_e32 v62, 0x50, v180
	v_add_co_u32_e32 v62, vcc, s10, v62
	v_accvgpr_write_b32 a165, v83
	v_addc_co_u32_e32 v63, vcc, 0, v177, vcc
	v_accvgpr_write_b32 a164, v82
	v_accvgpr_write_b32 a163, v81
	;; [unrolled: 1-line block ×3, first 2 shown]
	global_load_dwordx4 v[84:87], v[62:63], off offset:848
	global_load_dwordx4 v[80:83], v[62:63], off offset:832
	global_load_dwordx4 v[94:97], v[62:63], off offset:816
	global_load_dwordx4 v[98:101], v[62:63], off offset:800
	s_movk_i32 s11, 0x168
	buffer_store_dword v191, off, s[44:47], 0 offset:212 ; 4-byte Folded Spill
	s_waitcnt vmcnt(4)
	v_accvgpr_write_b32 a251, v87
	v_accvgpr_write_b32 a250, v86
	;; [unrolled: 1-line block ×3, first 2 shown]
	s_waitcnt vmcnt(1) lgkmcnt(10)
	v_mul_f64 v[66:67], v[58:59], v[100:101]
	v_mul_f64 v[92:93], v[56:57], v[100:101]
	v_accvgpr_write_b32 a76, v98
	v_fma_f64 v[90:91], v[56:57], v[98:99], -v[66:67]
	v_fmac_f64_e32 v[92:93], v[58:59], v[98:99]
	v_accvgpr_write_b32 a77, v99
	v_accvgpr_write_b32 a78, v100
	;; [unrolled: 1-line block ×3, first 2 shown]
	v_pk_mov_b32 v[98:99], v[96:97], v[96:97] op_sel:[0,1]
	v_pk_mov_b32 v[96:97], v[94:95], v[94:95] op_sel:[0,1]
	s_waitcnt lgkmcnt(9)
	v_mul_f64 v[56:57], v[54:55], v[98:99]
	v_mul_f64 v[94:95], v[52:53], v[98:99]
	v_fma_f64 v[88:89], v[52:53], v[96:97], -v[56:57]
	v_fmac_f64_e32 v[94:95], v[54:55], v[96:97]
	v_pk_mov_b32 v[54:55], v[80:81], v[80:81] op_sel:[0,1]
	v_pk_mov_b32 v[56:57], v[82:83], v[82:83] op_sel:[0,1]
	v_accvgpr_write_b32 a129, v99
	s_waitcnt lgkmcnt(8)
	v_mul_f64 v[52:53], v[50:51], v[56:57]
	v_accvgpr_write_b32 a128, v98
	v_accvgpr_write_b32 a127, v97
	;; [unrolled: 1-line block ×3, first 2 shown]
	v_fma_f64 v[80:81], v[48:49], v[54:55], -v[52:53]
	v_mul_f64 v[82:83], v[48:49], v[56:57]
	s_waitcnt lgkmcnt(7)
	v_mul_f64 v[48:49], v[46:47], v[86:87]
	v_mul_f64 v[98:99], v[44:45], v[86:87]
	v_fma_f64 v[96:97], v[44:45], v[84:85], -v[48:49]
	v_fmac_f64_e32 v[98:99], v[46:47], v[84:85]
	global_load_dwordx4 v[46:49], v[62:63], off offset:864
	v_accvgpr_write_b32 a248, v84
	v_accvgpr_write_b32 a157, v57
	v_fmac_f64_e32 v[82:83], v[50:51], v[54:55]
	v_accvgpr_write_b32 a156, v56
	v_accvgpr_write_b32 a155, v55
	v_accvgpr_write_b32 a154, v54
	s_waitcnt vmcnt(0) lgkmcnt(6)
	v_mul_f64 v[44:45], v[42:43], v[48:49]
	v_fma_f64 v[84:85], v[40:41], v[46:47], -v[44:45]
	v_mul_f64 v[86:87], v[40:41], v[48:49]
	v_mul_u32_u24_e32 v40, 0x8889, v191
	v_lshrrev_b32_e32 v176, 21, v40
	v_mul_lo_u16_e32 v40, 60, v176
	v_sub_u16_e32 v181, v191, v40
	v_mul_lo_u16_e32 v40, 0x50, v181
	v_add_co_u32_e32 v40, vcc, s10, v40
	v_accvgpr_write_b32 a243, v49
	v_addc_co_u32_e32 v41, vcc, 0, v177, vcc
	v_fmac_f64_e32 v[86:87], v[42:43], v[46:47]
	v_accvgpr_write_b32 a242, v48
	v_accvgpr_write_b32 a241, v47
	;; [unrolled: 1-line block ×3, first 2 shown]
	global_load_dwordx4 v[44:47], v[40:41], off offset:848
	global_load_dwordx4 v[48:51], v[40:41], off offset:832
	;; [unrolled: 1-line block ×4, first 2 shown]
	v_cmp_lt_u16_e32 vcc, 59, v188
	s_waitcnt vmcnt(3) lgkmcnt(1)
	v_mul_f64 v[118:119], v[24:25], v[46:47]
	s_waitcnt vmcnt(2)
	v_mul_f64 v[102:103], v[28:29], v[50:51]
	s_waitcnt vmcnt(1)
	;; [unrolled: 2-line block ×3, first 2 shown]
	v_mul_f64 v[42:43], v[38:39], v[58:59]
	v_fma_f64 v[110:111], v[36:37], v[56:57], -v[42:43]
	v_mul_f64 v[112:113], v[36:37], v[58:59]
	v_mul_f64 v[36:37], v[34:35], v[54:55]
	v_fma_f64 v[108:109], v[32:33], v[52:53], -v[36:37]
	v_mul_f64 v[32:33], v[30:31], v[50:51]
	v_fma_f64 v[100:101], v[28:29], v[48:49], -v[32:33]
	;; [unrolled: 2-line block ×3, first 2 shown]
	v_fmac_f64_e32 v[118:119], v[26:27], v[44:45]
	global_load_dwordx4 v[26:29], v[40:41], off offset:864
	v_fmac_f64_e32 v[114:115], v[34:35], v[52:53]
	v_fmac_f64_e32 v[112:113], v[38:39], v[56:57]
	v_fmac_f64_e32 v[102:103], v[30:31], v[48:49]
	v_accvgpr_write_b32 a161, v51
	v_accvgpr_write_b32 a255, v47
	;; [unrolled: 1-line block ×16, first 2 shown]
	s_waitcnt lgkmcnt(0)
	s_barrier
	s_waitcnt vmcnt(0)
	v_mul_f64 v[24:25], v[22:23], v[28:29]
	v_fma_f64 v[104:105], v[20:21], v[26:27], -v[24:25]
	v_mul_f64 v[106:107], v[20:21], v[28:29]
	v_add_f64 v[20:21], v[16:17], v[152:153]
	v_add_f64 v[32:33], v[20:21], v[160:161]
	;; [unrolled: 1-line block ×3, first 2 shown]
	v_fmac_f64_e32 v[16:17], -0.5, v[20:21]
	v_add_f64 v[20:21], v[154:155], -v[162:163]
	v_fma_f64 v[34:35], s[18:19], v[20:21], v[16:17]
	v_fmac_f64_e32 v[16:17], s[20:21], v[20:21]
	v_add_f64 v[20:21], v[18:19], v[154:155]
	v_add_f64 v[38:39], v[20:21], v[162:163]
	;; [unrolled: 1-line block ×3, first 2 shown]
	v_fmac_f64_e32 v[18:19], -0.5, v[20:21]
	v_add_f64 v[20:21], v[152:153], -v[160:161]
	v_fma_f64 v[40:41], s[20:21], v[20:21], v[18:19]
	v_fmac_f64_e32 v[18:19], s[18:19], v[20:21]
	v_add_f64 v[20:21], v[144:145], v[148:149]
	v_add_f64 v[36:37], v[20:21], v[156:157]
	;; [unrolled: 1-line block ×3, first 2 shown]
	v_fmac_f64_e32 v[144:145], -0.5, v[20:21]
	v_add_f64 v[20:21], v[150:151], -v[158:159]
	v_fmac_f64_e32 v[106:107], v[22:23], v[26:27]
	v_fma_f64 v[22:23], s[18:19], v[20:21], v[144:145]
	v_fmac_f64_e32 v[144:145], s[20:21], v[20:21]
	v_add_f64 v[20:21], v[146:147], v[150:151]
	v_add_f64 v[42:43], v[20:21], v[158:159]
	;; [unrolled: 1-line block ×3, first 2 shown]
	v_fmac_f64_e32 v[146:147], -0.5, v[20:21]
	v_add_f64 v[20:21], v[148:149], -v[156:157]
	v_fma_f64 v[30:31], s[20:21], v[20:21], v[146:147]
	v_mul_f64 v[44:45], v[30:31], s[18:19]
	v_mul_f64 v[48:49], v[22:23], s[20:21]
	v_fmac_f64_e32 v[44:45], 0.5, v[22:23]
	v_fmac_f64_e32 v[48:49], 0.5, v[30:31]
	v_fmac_f64_e32 v[146:147], s[18:19], v[20:21]
	v_add_f64 v[24:25], v[32:33], v[36:37]
	v_add_f64 v[20:21], v[34:35], v[44:45]
	v_add_f64 v[22:23], v[40:41], v[48:49]
	v_add_f64 v[36:37], v[32:33], -v[36:37]
	v_add_f64 v[32:33], v[34:35], -v[44:45]
	;; [unrolled: 1-line block ×3, first 2 shown]
	v_add_f64 v[40:41], v[12:13], v[136:137]
	v_add_f64 v[52:53], v[40:41], v[140:141]
	;; [unrolled: 1-line block ×3, first 2 shown]
	v_fmac_f64_e32 v[12:13], -0.5, v[40:41]
	v_add_f64 v[40:41], v[138:139], -v[142:143]
	v_fma_f64 v[54:55], s[18:19], v[40:41], v[12:13]
	v_fmac_f64_e32 v[12:13], s[20:21], v[40:41]
	v_add_f64 v[40:41], v[14:15], v[138:139]
	v_add_f64 v[58:59], v[40:41], v[142:143]
	v_add_f64 v[40:41], v[138:139], v[142:143]
	v_fmac_f64_e32 v[14:15], -0.5, v[40:41]
	v_add_f64 v[40:41], v[136:137], -v[140:141]
	v_fma_f64 v[62:63], s[20:21], v[40:41], v[14:15]
	v_fmac_f64_e32 v[14:15], s[18:19], v[40:41]
	v_add_f64 v[40:41], v[124:125], v[128:129]
	v_add_f64 v[56:57], v[40:41], v[132:133]
	;; [unrolled: 1-line block ×3, first 2 shown]
	v_accvgpr_write_b32 a247, v29
	v_fmac_f64_e32 v[124:125], -0.5, v[40:41]
	v_add_f64 v[40:41], v[130:131], -v[134:135]
	v_accvgpr_write_b32 a246, v28
	v_accvgpr_write_b32 a245, v27
	;; [unrolled: 1-line block ×3, first 2 shown]
	v_add_f64 v[26:27], v[38:39], v[42:43]
	v_add_f64 v[38:39], v[38:39], -v[42:43]
	v_fma_f64 v[42:43], s[18:19], v[40:41], v[124:125]
	v_fmac_f64_e32 v[124:125], s[20:21], v[40:41]
	v_add_f64 v[40:41], v[126:127], v[130:131]
	v_mul_f64 v[50:51], v[146:147], -0.5
	v_add_f64 v[66:67], v[40:41], v[134:135]
	v_add_f64 v[40:41], v[130:131], v[134:135]
	v_fmac_f64_e32 v[50:51], s[20:21], v[144:145]
	v_fmac_f64_e32 v[126:127], -0.5, v[40:41]
	v_add_f64 v[40:41], v[128:129], -v[132:133]
	v_add_f64 v[30:31], v[18:19], v[50:51]
	v_add_f64 v[18:19], v[18:19], -v[50:51]
	v_fma_f64 v[50:51], s[20:21], v[40:41], v[126:127]
	v_mul_f64 v[128:129], v[50:51], s[18:19]
	v_mul_f64 v[132:133], v[42:43], s[20:21]
	v_fmac_f64_e32 v[126:127], s[18:19], v[40:41]
	v_fmac_f64_e32 v[128:129], 0.5, v[42:43]
	v_mul_f64 v[130:131], v[124:125], -0.5
	v_fmac_f64_e32 v[132:133], 0.5, v[50:51]
	v_add_f64 v[44:45], v[52:53], v[56:57]
	v_add_f64 v[40:41], v[54:55], v[128:129]
	v_fmac_f64_e32 v[130:131], s[18:19], v[126:127]
	v_add_f64 v[42:43], v[62:63], v[132:133]
	v_mul_f64 v[126:127], v[126:127], -0.5
	v_add_f64 v[56:57], v[52:53], -v[56:57]
	v_add_f64 v[52:53], v[54:55], -v[128:129]
	;; [unrolled: 1-line block ×3, first 2 shown]
	v_add_f64 v[62:63], v[8:9], v[78:79]
	v_fmac_f64_e32 v[126:127], s[20:21], v[124:125]
	v_add_f64 v[124:125], v[62:63], v[70:71]
	v_add_f64 v[62:63], v[78:79], v[70:71]
	v_fmac_f64_e32 v[8:9], -0.5, v[62:63]
	v_add_f64 v[62:63], v[122:123], -v[74:75]
	v_add_f64 v[50:51], v[14:15], v[126:127]
	v_add_f64 v[14:15], v[14:15], -v[126:127]
	v_fma_f64 v[126:127], s[18:19], v[62:63], v[8:9]
	v_fmac_f64_e32 v[8:9], s[20:21], v[62:63]
	v_add_f64 v[62:63], v[10:11], v[122:123]
	v_add_f64 v[128:129], v[62:63], v[74:75]
	;; [unrolled: 1-line block ×3, first 2 shown]
	v_fmac_f64_e32 v[10:11], -0.5, v[62:63]
	v_add_f64 v[62:63], v[78:79], -v[70:71]
	v_fma_f64 v[74:75], s[20:21], v[62:63], v[10:11]
	v_fmac_f64_e32 v[10:11], s[18:19], v[62:63]
	v_add_f64 v[62:63], v[120:121], v[72:73]
	v_add_f64 v[78:79], v[62:63], v[64:65]
	;; [unrolled: 1-line block ×3, first 2 shown]
	v_fmac_f64_e32 v[120:121], -0.5, v[62:63]
	v_add_f64 v[62:63], v[68:69], -v[60:61]
	v_fma_f64 v[70:71], s[18:19], v[62:63], v[120:121]
	v_fmac_f64_e32 v[120:121], s[20:21], v[62:63]
	v_add_f64 v[62:63], v[76:77], v[68:69]
	v_add_f64 v[122:123], v[62:63], v[60:61]
	;; [unrolled: 1-line block ×3, first 2 shown]
	v_mul_f64 v[46:47], v[144:145], -0.5
	v_fmac_f64_e32 v[76:77], -0.5, v[60:61]
	v_add_f64 v[60:61], v[72:73], -v[64:65]
	v_fmac_f64_e32 v[46:47], s[18:19], v[146:147]
	v_add_f64 v[48:49], v[12:13], v[130:131]
	v_add_f64 v[12:13], v[12:13], -v[130:131]
	v_fma_f64 v[62:63], s[20:21], v[60:61], v[76:77]
	v_fmac_f64_e32 v[76:77], s[18:19], v[60:61]
	v_mul_f64 v[130:131], v[120:121], -0.5
	v_add_f64 v[28:29], v[16:17], v[46:47]
	v_add_f64 v[16:17], v[16:17], -v[46:47]
	v_add_f64 v[46:47], v[58:59], v[66:67]
	v_add_f64 v[58:59], v[58:59], -v[66:67]
	v_add_f64 v[64:65], v[124:125], v[78:79]
	v_fmac_f64_e32 v[130:131], s[18:19], v[76:77]
	v_add_f64 v[66:67], v[128:129], v[122:123]
	v_mul_f64 v[134:135], v[76:77], -0.5
	v_add_f64 v[76:77], v[124:125], -v[78:79]
	v_add_f64 v[78:79], v[128:129], -v[122:123]
	v_add_f64 v[122:123], v[88:89], v[96:97]
	v_fmac_f64_e32 v[134:135], s[20:21], v[120:121]
	v_add_f64 v[120:121], v[4:5], v[88:89]
	v_fmac_f64_e32 v[4:5], -0.5, v[122:123]
	v_add_f64 v[122:123], v[94:95], -v[98:99]
	v_fma_f64 v[124:125], s[18:19], v[122:123], v[4:5]
	v_fmac_f64_e32 v[4:5], s[20:21], v[122:123]
	v_add_f64 v[122:123], v[6:7], v[94:95]
	v_add_f64 v[94:95], v[94:95], v[98:99]
	v_fmac_f64_e32 v[6:7], -0.5, v[94:95]
	v_add_f64 v[88:89], v[88:89], -v[96:97]
	v_fma_f64 v[94:95], s[20:21], v[88:89], v[6:7]
	v_fmac_f64_e32 v[6:7], s[18:19], v[88:89]
	v_add_f64 v[88:89], v[90:91], v[80:81]
	v_add_f64 v[120:121], v[120:121], v[96:97]
	;; [unrolled: 1-line block ×4, first 2 shown]
	v_fmac_f64_e32 v[90:91], -0.5, v[88:89]
	v_add_f64 v[88:89], v[82:83], -v[86:87]
	v_add_f64 v[122:123], v[122:123], v[98:99]
	v_fma_f64 v[98:99], s[18:19], v[88:89], v[90:91]
	v_fmac_f64_e32 v[90:91], s[20:21], v[88:89]
	v_add_f64 v[88:89], v[92:93], v[82:83]
	v_add_f64 v[82:83], v[82:83], v[86:87]
	v_mul_f64 v[72:73], v[62:63], s[18:19]
	v_fmac_f64_e32 v[92:93], -0.5, v[82:83]
	v_add_f64 v[80:81], v[80:81], -v[84:85]
	v_fmac_f64_e32 v[72:73], 0.5, v[70:71]
	v_mul_f64 v[132:133], v[70:71], s[20:21]
	v_fma_f64 v[82:83], s[20:21], v[80:81], v[92:93]
	v_add_f64 v[60:61], v[126:127], v[72:73]
	v_fmac_f64_e32 v[132:133], 0.5, v[62:63]
	v_add_f64 v[72:73], v[126:127], -v[72:73]
	v_add_f64 v[126:127], v[88:89], v[86:87]
	v_mul_f64 v[128:129], v[82:83], s[18:19]
	v_add_f64 v[62:63], v[74:75], v[132:133]
	v_add_f64 v[74:75], v[74:75], -v[132:133]
	v_fmac_f64_e32 v[128:129], 0.5, v[98:99]
	v_add_f64 v[86:87], v[122:123], v[126:127]
	v_mul_f64 v[132:133], v[98:99], s[20:21]
	v_add_f64 v[98:99], v[122:123], -v[126:127]
	v_add_f64 v[122:123], v[108:109], v[116:117]
	v_add_f64 v[68:69], v[8:9], v[130:131]
	v_add_f64 v[8:9], v[8:9], -v[130:131]
	v_fmac_f64_e32 v[92:93], s[18:19], v[80:81]
	v_add_f64 v[84:85], v[120:121], v[96:97]
	v_mul_f64 v[130:131], v[90:91], -0.5
	v_add_f64 v[96:97], v[120:121], -v[96:97]
	v_add_f64 v[120:121], v[0:1], v[108:109]
	v_fmac_f64_e32 v[0:1], -0.5, v[122:123]
	v_add_f64 v[122:123], v[114:115], -v[118:119]
	v_add_f64 v[70:71], v[10:11], v[134:135]
	v_add_f64 v[10:11], v[10:11], -v[134:135]
	v_add_f64 v[80:81], v[124:125], v[128:129]
	v_fmac_f64_e32 v[130:131], s[18:19], v[92:93]
	v_mul_f64 v[134:135], v[92:93], -0.5
	v_add_f64 v[92:93], v[124:125], -v[128:129]
	v_fma_f64 v[124:125], s[18:19], v[122:123], v[0:1]
	v_fmac_f64_e32 v[0:1], s[20:21], v[122:123]
	v_add_f64 v[122:123], v[2:3], v[114:115]
	v_add_f64 v[114:115], v[114:115], v[118:119]
	v_fmac_f64_e32 v[2:3], -0.5, v[114:115]
	v_add_f64 v[108:109], v[108:109], -v[116:117]
	v_fma_f64 v[114:115], s[20:21], v[108:109], v[2:3]
	v_fmac_f64_e32 v[2:3], s[18:19], v[108:109]
	v_add_f64 v[108:109], v[110:111], v[100:101]
	v_add_f64 v[120:121], v[120:121], v[116:117]
	;; [unrolled: 1-line block ×4, first 2 shown]
	v_add_f64 v[100:101], v[100:101], -v[104:105]
	v_add_f64 v[104:105], v[120:121], v[116:117]
	v_add_f64 v[116:117], v[120:121], -v[116:117]
	v_mov_b32_e32 v120, 0x168
	v_cndmask_b32_e32 v120, 0, v120, vcc
	v_add_lshl_u32 v120, v164, v120, 4
	buffer_store_dword v120, off, s[44:47], 0 offset:680 ; 4-byte Folded Spill
	ds_write_b128 v120, v[24:27]
	ds_write_b128 v120, v[20:23] offset:960
	ds_write_b128 v120, v[28:31] offset:1920
	;; [unrolled: 1-line block ×5, first 2 shown]
	v_mul_u32_u24_e32 v16, 0x168, v178
	v_fmac_f64_e32 v[110:111], -0.5, v[108:109]
	v_add_f64 v[108:109], v[102:103], -v[106:107]
	v_add_lshl_u32 v16, v16, v182, 4
	v_add_f64 v[122:123], v[122:123], v[118:119]
	v_fma_f64 v[118:119], s[18:19], v[108:109], v[110:111]
	v_fmac_f64_e32 v[110:111], s[20:21], v[108:109]
	v_add_f64 v[108:109], v[112:113], v[102:103]
	v_add_f64 v[102:103], v[102:103], v[106:107]
	buffer_store_dword v16, off, s[44:47], 0 offset:676 ; 4-byte Folded Spill
	ds_write_b128 v16, v[44:47]
	ds_write_b128 v16, v[40:43] offset:960
	ds_write_b128 v16, v[48:51] offset:1920
	;; [unrolled: 1-line block ×5, first 2 shown]
	v_mad_legacy_u16 v12, v165, s11, v179
	v_fmac_f64_e32 v[112:113], -0.5, v[102:103]
	v_lshlrev_b32_e32 v12, 4, v12
	v_fmac_f64_e32 v[132:133], 0.5, v[82:83]
	v_fmac_f64_e32 v[134:135], s[20:21], v[90:91]
	v_fma_f64 v[102:103], s[20:21], v[100:101], v[112:113]
	v_fmac_f64_e32 v[112:113], s[18:19], v[100:101]
	buffer_store_dword v12, off, s[44:47], 0 offset:656 ; 4-byte Folded Spill
	ds_write_b128 v12, v[64:67]
	ds_write_b128 v12, v[60:63] offset:960
	ds_write_b128 v12, v[68:71] offset:1920
	;; [unrolled: 1-line block ×5, first 2 shown]
	v_mad_legacy_u16 v8, v175, s11, v180
	v_add_co_u32_e32 v146, vcc, s10, v242
	v_add_f64 v[88:89], v[4:5], v[130:131]
	v_add_f64 v[82:83], v[94:95], v[132:133]
	;; [unrolled: 1-line block ×3, first 2 shown]
	v_add_f64 v[4:5], v[4:5], -v[130:131]
	v_add_f64 v[94:95], v[94:95], -v[132:133]
	;; [unrolled: 1-line block ×3, first 2 shown]
	v_add_f64 v[126:127], v[108:109], v[106:107]
	v_mul_f64 v[128:129], v[102:103], s[18:19]
	v_mul_f64 v[130:131], v[110:111], -0.5
	v_mul_f64 v[132:133], v[118:119], s[20:21]
	v_mul_f64 v[134:135], v[112:113], -0.5
	v_lshlrev_b32_e32 v8, 4, v8
	v_addc_co_u32_e32 v147, vcc, 0, v177, vcc
	v_fmac_f64_e32 v[128:129], 0.5, v[118:119]
	v_fmac_f64_e32 v[130:131], s[18:19], v[112:113]
	v_add_f64 v[106:107], v[122:123], v[126:127]
	v_fmac_f64_e32 v[132:133], 0.5, v[102:103]
	v_fmac_f64_e32 v[134:135], s[20:21], v[110:111]
	v_add_f64 v[118:119], v[122:123], -v[126:127]
	buffer_store_dword v8, off, s[44:47], 0 offset:652 ; 4-byte Folded Spill
	ds_write_b128 v8, v[84:87]
	ds_write_b128 v8, v[80:83] offset:960
	ds_write_b128 v8, v[88:91] offset:1920
	;; [unrolled: 1-line block ×5, first 2 shown]
	v_mad_legacy_u16 v4, v176, s11, v181
	v_add_co_u32_e32 v126, vcc, s28, v146
	v_add_f64 v[100:101], v[124:125], v[128:129]
	v_add_f64 v[108:109], v[0:1], v[130:131]
	;; [unrolled: 1-line block ×4, first 2 shown]
	v_add_f64 v[112:113], v[124:125], -v[128:129]
	v_add_f64 v[0:1], v[0:1], -v[130:131]
	;; [unrolled: 1-line block ×4, first 2 shown]
	v_lshlrev_b32_e32 v4, 4, v4
	v_addc_co_u32_e32 v127, vcc, 0, v147, vcc
	buffer_store_dword v4, off, s[44:47], 0 offset:648 ; 4-byte Folded Spill
	ds_write_b128 v4, v[104:107]
	ds_write_b128 v4, v[100:103] offset:960
	ds_write_b128 v4, v[108:111] offset:1920
	;; [unrolled: 1-line block ×5, first 2 shown]
	s_waitcnt lgkmcnt(0)
	s_barrier
	ds_read_b128 v[56:59], v242
	ds_read_b128 v[116:119], v242 offset:23040
	ds_read_b128 v[52:55], v242 offset:1536
	;; [unrolled: 1-line block ×29, first 2 shown]
	global_load_dwordx4 v[128:131], v[126:127], off offset:1504
	s_movk_i32 s11, 0xffb8
	buffer_store_dword v189, off, s[44:47], 0 offset:216 ; 4-byte Folded Spill
	buffer_store_dword v190, off, s[44:47], 0 offset:220 ; 4-byte Folded Spill
	s_waitcnt vmcnt(2) lgkmcnt(14)
	v_mul_f64 v[120:121], v[118:119], v[130:131]
	v_mul_f64 v[122:123], v[116:117], v[130:131]
	v_accvgpr_write_b32 a82, v128
	v_fma_f64 v[124:125], v[116:117], v[128:129], -v[120:121]
	v_fmac_f64_e32 v[122:123], v[118:119], v[128:129]
	v_accvgpr_write_b32 a83, v129
	v_accvgpr_write_b32 a84, v130
	;; [unrolled: 1-line block ×3, first 2 shown]
	global_load_dwordx4 v[128:131], v[126:127], off offset:3040
	v_add_co_u32_e32 v120, vcc, s29, v146
	v_addc_co_u32_e32 v121, vcc, 0, v147, vcc
	s_waitcnt vmcnt(0)
	v_mul_f64 v[116:117], v[114:115], v[130:131]
	v_fma_f64 v[118:119], v[112:113], v[128:129], -v[116:117]
	v_mul_f64 v[116:117], v[112:113], v[130:131]
	v_accvgpr_write_b32 a235, v131
	v_fmac_f64_e32 v[116:117], v[114:115], v[128:129]
	v_accvgpr_write_b32 a234, v130
	v_accvgpr_write_b32 a233, v129
	;; [unrolled: 1-line block ×3, first 2 shown]
	global_load_dwordx4 v[128:131], v[120:121], off offset:480
	s_waitcnt vmcnt(0)
	v_mul_f64 v[112:113], v[110:111], v[130:131]
	v_fma_f64 v[114:115], v[108:109], v[128:129], -v[112:113]
	v_mul_f64 v[112:113], v[108:109], v[130:131]
	v_add_co_u32_e32 v108, vcc, s11, v188
	s_movk_i32 s11, 0x48
	v_addc_co_u32_e64 v109, s[40:41], 0, -1, vcc
	v_cmp_gt_u16_e32 vcc, s11, v188
	v_cndmask_b32_e32 v109, v109, v170, vcc
	v_cndmask_b32_e32 v108, v108, v169, vcc
	v_fmac_f64_e32 v[112:113], v[110:111], v[128:129]
	v_lshlrev_b64 v[110:111], 4, v[108:109]
	v_add_co_u32_e32 v109, vcc, s10, v110
	v_addc_co_u32_e32 v111, vcc, v177, v111, vcc
	v_add_co_u32_e32 v110, vcc, s28, v109
	v_accvgpr_write_b32 a56, v128
	v_addc_co_u32_e32 v111, vcc, 0, v111, vcc
	v_accvgpr_write_b32 a57, v129
	v_accvgpr_write_b32 a58, v130
	v_accvgpr_write_b32 a59, v131
	global_load_dwordx4 v[128:131], v[110:111], off offset:1504
	s_movk_i32 s11, 0x2d83
	s_waitcnt vmcnt(0)
	v_mul_f64 v[110:111], v[106:107], v[130:131]
	v_fma_f64 v[110:111], v[104:105], v[128:129], -v[110:111]
	v_mul_f64 v[104:105], v[104:105], v[130:131]
	v_accvgpr_write_b32 a52, v128
	v_fmac_f64_e32 v[104:105], v[106:107], v[128:129]
	v_accvgpr_write_b32 a53, v129
	v_accvgpr_write_b32 a54, v130
	v_accvgpr_write_b32 a55, v131
	global_load_dwordx4 v[128:131], v[126:127], off offset:1888
	s_waitcnt vmcnt(0)
	v_mul_f64 v[106:107], v[102:103], v[130:131]
	v_fma_f64 v[106:107], v[100:101], v[128:129], -v[106:107]
	v_mul_f64 v[100:101], v[100:101], v[130:131]
	v_accvgpr_write_b32 a96, v128
	v_fmac_f64_e32 v[100:101], v[102:103], v[128:129]
	v_accvgpr_write_b32 a97, v129
	v_accvgpr_write_b32 a98, v130
	v_accvgpr_write_b32 a99, v131
	global_load_dwordx4 v[126:129], v[126:127], off offset:3424
	s_waitcnt vmcnt(0)
	v_mul_f64 v[102:103], v[98:99], v[128:129]
	v_fma_f64 v[102:103], v[96:97], v[126:127], -v[102:103]
	v_mul_f64 v[96:97], v[96:97], v[128:129]
	v_accvgpr_write_b32 a100, v126
	v_fmac_f64_e32 v[96:97], v[98:99], v[126:127]
	v_accvgpr_write_b32 a101, v127
	v_accvgpr_write_b32 a102, v128
	v_accvgpr_write_b32 a103, v129
	global_load_dwordx4 v[126:129], v[120:121], off offset:864
	s_waitcnt vmcnt(0)
	v_mul_f64 v[98:99], v[94:95], v[128:129]
	v_fma_f64 v[98:99], v[92:93], v[126:127], -v[98:99]
	v_mul_f64 v[92:93], v[92:93], v[128:129]
	v_fmac_f64_e32 v[92:93], v[94:95], v[126:127]
	v_mul_u32_u24_sdwa v94, v166, s11 dst_sel:DWORD dst_unused:UNUSED_PAD src0_sel:WORD_0 src1_sel:DWORD
	v_lshrrev_b32_e32 v109, 22, v94
	v_accvgpr_write_b32 a110, v126
	v_mul_lo_u16_e32 v94, 0x168, v109
	v_accvgpr_write_b32 a111, v127
	v_accvgpr_write_b32 a112, v128
	;; [unrolled: 1-line block ×3, first 2 shown]
	v_sub_u16_e32 v126, v166, v94
	v_lshlrev_b32_e32 v94, 4, v126
	v_add_co_u32_e32 v94, vcc, s10, v94
	v_addc_co_u32_e32 v95, vcc, 0, v177, vcc
	v_add_co_u32_e32 v94, vcc, s28, v94
	v_addc_co_u32_e32 v95, vcc, 0, v95, vcc
	global_load_dwordx4 v[128:131], v[94:95], off offset:1504
	s_waitcnt vmcnt(0)
	v_mul_f64 v[94:95], v[90:91], v[130:131]
	v_fma_f64 v[94:95], v[88:89], v[128:129], -v[94:95]
	v_mul_f64 v[88:89], v[88:89], v[130:131]
	v_fmac_f64_e32 v[88:89], v[90:91], v[128:129]
	v_mul_u32_u24_e32 v90, 0x2d83, v189
	v_lshrrev_b32_e32 v90, 22, v90
	v_mul_lo_u16_e32 v90, 0x168, v90
	v_accvgpr_write_b32 a48, v128
	v_sub_u16_e32 v90, v189, v90
	v_accvgpr_write_b32 a49, v129
	v_accvgpr_write_b32 a50, v130
	;; [unrolled: 1-line block ×3, first 2 shown]
	v_lshlrev_b32_e32 v131, 4, v90
	v_add_co_u32_e32 v90, vcc, s10, v131
	v_addc_co_u32_e32 v91, vcc, 0, v177, vcc
	v_add_co_u32_e32 v90, vcc, s28, v90
	v_addc_co_u32_e32 v91, vcc, 0, v91, vcc
	global_load_dwordx4 v[132:135], v[90:91], off offset:1504
	v_accvgpr_write_b32 a95, v131
	s_waitcnt vmcnt(0) lgkmcnt(12)
	v_mul_f64 v[90:91], v[86:87], v[134:135]
	v_fma_f64 v[90:91], v[84:85], v[132:133], -v[90:91]
	v_mul_f64 v[84:85], v[84:85], v[134:135]
	v_fmac_f64_e32 v[84:85], v[86:87], v[132:133]
	v_mul_u32_u24_sdwa v86, v168, s11 dst_sel:DWORD dst_unused:UNUSED_PAD src0_sel:WORD_0 src1_sel:DWORD
	v_lshrrev_b32_e32 v86, 22, v86
	v_mul_lo_u16_e32 v86, 0x168, v86
	v_sub_u16_e32 v86, v168, v86
	v_lshlrev_b32_e32 v148, 4, v86
	v_add_co_u32_e32 v86, vcc, s10, v148
	v_addc_co_u32_e32 v87, vcc, 0, v177, vcc
	v_add_co_u32_e32 v86, vcc, s28, v86
	v_accvgpr_write_b32 a44, v132
	v_addc_co_u32_e32 v87, vcc, 0, v87, vcc
	v_accvgpr_write_b32 a45, v133
	v_accvgpr_write_b32 a46, v134
	;; [unrolled: 1-line block ×3, first 2 shown]
	global_load_dwordx4 v[132:135], v[86:87], off offset:1504
	v_accvgpr_write_b32 a108, v148
	s_waitcnt vmcnt(0) lgkmcnt(10)
	v_mul_f64 v[86:87], v[82:83], v[134:135]
	v_fma_f64 v[86:87], v[80:81], v[132:133], -v[86:87]
	v_mul_f64 v[80:81], v[80:81], v[134:135]
	v_fmac_f64_e32 v[80:81], v[82:83], v[132:133]
	v_mul_u32_u24_sdwa v82, v171, s11 dst_sel:DWORD dst_unused:UNUSED_PAD src0_sel:WORD_0 src1_sel:DWORD
	v_lshrrev_b32_e32 v82, 22, v82
	v_mul_lo_u16_e32 v82, 0x168, v82
	v_sub_u16_e32 v82, v171, v82
	v_lshlrev_b32_e32 v149, 4, v82
	v_add_co_u32_e32 v82, vcc, s10, v149
	v_addc_co_u32_e32 v83, vcc, 0, v177, vcc
	v_add_co_u32_e32 v82, vcc, s28, v82
	v_accvgpr_write_b32 a12, v132
	v_addc_co_u32_e32 v83, vcc, 0, v83, vcc
	v_accvgpr_write_b32 a13, v133
	v_accvgpr_write_b32 a14, v134
	;; [unrolled: 1-line block ×3, first 2 shown]
	global_load_dwordx4 v[132:135], v[82:83], off offset:1504
	v_add_f64 v[80:81], v[22:23], -v[80:81]
	v_fma_f64 v[22:23], v[22:23], 2.0, -v[80:81]
	v_accvgpr_write_b32 a109, v149
	s_waitcnt vmcnt(0) lgkmcnt(8)
	v_mul_f64 v[82:83], v[78:79], v[134:135]
	v_fma_f64 v[82:83], v[76:77], v[132:133], -v[82:83]
	v_mul_f64 v[76:77], v[76:77], v[134:135]
	v_fmac_f64_e32 v[76:77], v[78:79], v[132:133]
	v_mul_u32_u24_sdwa v78, v174, s11 dst_sel:DWORD dst_unused:UNUSED_PAD src0_sel:WORD_0 src1_sel:DWORD
	v_lshrrev_b32_e32 v127, 22, v78
	v_mul_lo_u16_e32 v78, 0x168, v127
	v_sub_u16_e32 v130, v174, v78
	v_lshlrev_b32_e32 v78, 4, v130
	v_add_co_u32_e32 v78, vcc, s10, v78
	v_addc_co_u32_e32 v79, vcc, 0, v177, vcc
	v_add_co_u32_e32 v78, vcc, s28, v78
	v_accvgpr_write_b32 a8, v132
	v_addc_co_u32_e32 v79, vcc, 0, v79, vcc
	v_accvgpr_write_b32 a9, v133
	v_accvgpr_write_b32 a10, v134
	;; [unrolled: 1-line block ×3, first 2 shown]
	global_load_dwordx4 v[134:137], v[78:79], off offset:1504
	v_add_f64 v[82:83], v[16:17], -v[82:83]
	v_fma_f64 v[16:17], v[16:17], 2.0, -v[82:83]
	s_waitcnt vmcnt(0) lgkmcnt(6)
	v_mul_f64 v[78:79], v[74:75], v[136:137]
	v_fma_f64 v[128:129], v[72:73], v[134:135], -v[78:79]
	v_mul_f64 v[132:133], v[72:73], v[136:137]
	v_mul_u32_u24_e32 v72, 0x2d83, v190
	v_lshrrev_b32_e32 v72, 22, v72
	v_mul_lo_u16_e32 v72, 0x168, v72
	v_sub_u16_e32 v72, v190, v72
	v_lshlrev_b32_e32 v150, 4, v72
	v_add_co_u32_e32 v72, vcc, s10, v150
	v_addc_co_u32_e32 v73, vcc, 0, v177, vcc
	v_add_co_u32_e32 v72, vcc, s28, v72
	v_addc_co_u32_e32 v73, vcc, 0, v73, vcc
	global_load_dwordx4 v[138:141], v[72:73], off offset:1504
	v_accvgpr_write_b32 a4, v134
	v_fmac_f64_e32 v[132:133], v[74:75], v[134:135]
	v_accvgpr_write_b32 a5, v135
	v_accvgpr_write_b32 a6, v136
	;; [unrolled: 1-line block ×3, first 2 shown]
	v_add_f64 v[74:75], v[46:47], -v[104:105]
	v_add_f64 v[104:105], v[40:41], -v[106:107]
	;; [unrolled: 1-line block ×6, first 2 shown]
	v_fma_f64 v[46:47], v[46:47], 2.0, -v[74:75]
	v_fma_f64 v[40:41], v[40:41], 2.0, -v[104:105]
	;; [unrolled: 1-line block ×3, first 2 shown]
	v_add_f64 v[98:99], v[34:35], -v[92:93]
	v_fma_f64 v[32:33], v[32:33], 2.0, -v[96:97]
	v_fma_f64 v[36:37], v[36:37], 2.0, -v[100:101]
	;; [unrolled: 1-line block ×4, first 2 shown]
	v_add_f64 v[92:93], v[28:29], -v[94:95]
	v_add_f64 v[94:95], v[30:31], -v[88:89]
	;; [unrolled: 1-line block ×6, first 2 shown]
	v_fma_f64 v[28:29], v[28:29], 2.0, -v[92:93]
	v_fma_f64 v[30:31], v[30:31], 2.0, -v[94:95]
	;; [unrolled: 1-line block ×6, first 2 shown]
	v_accvgpr_write_b32 a167, v150
	s_waitcnt vmcnt(0) lgkmcnt(4)
	v_mul_f64 v[72:73], v[70:71], v[140:141]
	v_fma_f64 v[134:135], v[68:69], v[138:139], -v[72:73]
	v_mul_f64 v[136:137], v[68:69], v[140:141]
	v_mul_u32_u24_sdwa v68, v172, s11 dst_sel:DWORD dst_unused:UNUSED_PAD src0_sel:WORD_0 src1_sel:DWORD
	v_lshrrev_b32_e32 v68, 22, v68
	v_mul_lo_u16_e32 v68, 0x168, v68
	v_sub_u16_e32 v68, v172, v68
	v_lshlrev_b32_e32 v151, 4, v68
	v_add_co_u32_e32 v68, vcc, s10, v151
	v_addc_co_u32_e32 v69, vcc, 0, v177, vcc
	v_add_co_u32_e32 v68, vcc, s28, v68
	v_addc_co_u32_e32 v69, vcc, 0, v69, vcc
	global_load_dwordx4 v[252:255], v[68:69], off offset:1504
	v_accvgpr_write_b32 a0, v138
	v_fmac_f64_e32 v[136:137], v[70:71], v[138:139]
	v_accvgpr_write_b32 a1, v139
	v_accvgpr_write_b32 a2, v140
	;; [unrolled: 1-line block ×3, first 2 shown]
	v_add_f64 v[70:71], v[50:51], -v[112:113]
	v_fma_f64 v[50:51], v[50:51], 2.0, -v[70:71]
	v_add_f64 v[72:73], v[44:45], -v[110:111]
	v_fma_f64 v[44:45], v[44:45], 2.0, -v[72:73]
	v_add_f64 v[110:111], v[12:13], -v[128:129]
	v_add_f64 v[112:113], v[14:15], -v[132:133]
	v_fma_f64 v[12:13], v[12:13], 2.0, -v[110:111]
	v_fma_f64 v[14:15], v[14:15], 2.0, -v[112:113]
	s_waitcnt vmcnt(0) lgkmcnt(2)
	v_mul_f64 v[68:69], v[66:67], v[254:255]
	v_fma_f64 v[138:139], v[64:65], v[252:253], -v[68:69]
	v_mul_f64 v[140:141], v[64:65], v[254:255]
	v_mul_u32_u24_sdwa v64, v173, s11 dst_sel:DWORD dst_unused:UNUSED_PAD src0_sel:WORD_0 src1_sel:DWORD
	v_lshrrev_b32_e32 v64, 22, v64
	v_mul_lo_u16_e32 v64, 0x168, v64
	v_sub_u16_e32 v64, v173, v64
	v_lshlrev_b32_e32 v152, 4, v64
	v_add_co_u32_e32 v64, vcc, s10, v152
	v_addc_co_u32_e32 v65, vcc, 0, v177, vcc
	v_add_co_u32_e32 v64, vcc, s28, v64
	v_addc_co_u32_e32 v65, vcc, 0, v65, vcc
	global_load_dwordx4 v[248:251], v[64:65], off offset:1504
	v_add_f64 v[68:69], v[48:49], -v[114:115]
	v_fmac_f64_e32 v[140:141], v[66:67], v[252:253]
	v_add_f64 v[66:67], v[54:55], -v[116:117]
	v_fma_f64 v[48:49], v[48:49], 2.0, -v[68:69]
	s_movk_i32 s11, 0x47
	v_fma_f64 v[54:55], v[54:55], 2.0, -v[66:67]
	s_waitcnt lgkmcnt(0)
	s_barrier
	v_cmp_lt_u16_e32 vcc, s11, v188
	s_movk_i32 s11, 0x2d0
	v_add_f64 v[114:115], v[8:9], -v[134:135]
	v_add_f64 v[116:117], v[10:11], -v[136:137]
	v_fma_f64 v[8:9], v[8:9], 2.0, -v[114:115]
	v_fma_f64 v[10:11], v[10:11], 2.0, -v[116:117]
	s_waitcnt vmcnt(0)
	v_mul_f64 v[64:65], v[62:63], v[250:251]
	v_mul_f64 v[144:145], v[60:61], v[250:251]
	v_fma_f64 v[142:143], v[60:61], v[248:249], -v[64:65]
	v_fmac_f64_e32 v[144:145], v[62:63], v[248:249]
	v_add_f64 v[60:61], v[56:57], -v[124:125]
	v_add_f64 v[62:63], v[58:59], -v[122:123]
	v_fma_f64 v[56:57], v[56:57], 2.0, -v[60:61]
	v_fma_f64 v[58:59], v[58:59], 2.0, -v[62:63]
	v_add_f64 v[64:65], v[52:53], -v[118:119]
	v_fma_f64 v[52:53], v[52:53], 2.0, -v[64:65]
	ds_write_b128 v242, v[56:59]
	ds_write_b128 v242, v[60:63] offset:5760
	ds_write_b128 v242, v[52:55] offset:1536
	;; [unrolled: 1-line block ×5, first 2 shown]
	v_mov_b32_e32 v48, 0x2d0
	v_cndmask_b32_e32 v48, 0, v48, vcc
	v_add_lshl_u32 v48, v108, v48, 4
	ds_write_b128 v48, v[44:47]
	ds_write_b128 v48, v[72:75] offset:5760
	ds_write_b128 v242, v[40:43] offset:11904
	ds_write_b128 v242, v[104:107] offset:17664
	ds_write_b128 v242, v[36:39] offset:13440
	ds_write_b128 v242, v[100:103] offset:19200
	ds_write_b128 v242, v[32:35] offset:14976
	ds_write_b128 v242, v[96:99] offset:20736
	v_mad_legacy_u16 v32, v109, s11, v126
	v_lshlrev_b32_e32 v32, 4, v32
	v_add_f64 v[122:123], v[4:5], -v[138:139]
	v_add_f64 v[124:125], v[6:7], -v[140:141]
	;; [unrolled: 1-line block ×4, first 2 shown]
	ds_write_b128 v32, v[28:31]
	ds_write_b128 v32, v[92:95] offset:5760
	ds_write_b128 v131, v[24:27] offset:23040
	;; [unrolled: 1-line block ×7, first 2 shown]
	v_mad_legacy_u16 v16, v127, s11, v130
	v_fma_f64 v[4:5], v[4:5], 2.0, -v[122:123]
	v_fma_f64 v[6:7], v[6:7], 2.0, -v[124:125]
	;; [unrolled: 1-line block ×4, first 2 shown]
	v_lshlrev_b32_e32 v16, 4, v16
	v_accvgpr_write_b32 a81, v48
	v_accvgpr_write_b32 a94, v32
	ds_write_b128 v16, v[12:15]
	ds_write_b128 v16, v[110:113] offset:5760
	v_accvgpr_write_b32 a166, v16
	ds_write_b128 v150, v[8:11] offset:34560
	ds_write_b128 v150, v[114:117] offset:40320
	buffer_store_dword v151, off, s[44:47], 0 offset:720 ; 4-byte Folded Spill
	ds_write_b128 v151, v[4:7] offset:34560
	ds_write_b128 v151, v[122:125] offset:40320
	buffer_store_dword v152, off, s[44:47], 0 offset:700 ; 4-byte Folded Spill
	ds_write_b128 v152, v[0:3] offset:34560
	ds_write_b128 v152, v[132:135] offset:40320
	s_waitcnt lgkmcnt(0)
	s_barrier
	ds_read_b128 v[56:59], v242
	ds_read_b128 v[116:119], v242 offset:23040
	ds_read_b128 v[52:55], v242 offset:1536
	ds_read_b128 v[112:115], v242 offset:24576
	ds_read_b128 v[48:51], v242 offset:3072
	ds_read_b128 v[108:111], v242 offset:26112
	ds_read_b128 v[44:47], v242 offset:4608
	ds_read_b128 v[104:107], v242 offset:27648
	ds_read_b128 v[40:43], v242 offset:6144
	ds_read_b128 v[100:103], v242 offset:29184
	ds_read_b128 v[36:39], v242 offset:7680
	ds_read_b128 v[96:99], v242 offset:30720
	ds_read_b128 v[32:35], v242 offset:9216
	ds_read_b128 v[92:95], v242 offset:32256
	ds_read_b128 v[28:31], v242 offset:10752
	ds_read_b128 v[88:91], v242 offset:33792
	ds_read_b128 v[24:27], v242 offset:12288
	ds_read_b128 v[84:87], v242 offset:35328
	ds_read_b128 v[20:23], v242 offset:13824
	ds_read_b128 v[80:83], v242 offset:36864
	ds_read_b128 v[16:19], v242 offset:15360
	ds_read_b128 v[76:79], v242 offset:38400
	ds_read_b128 v[12:15], v242 offset:16896
	ds_read_b128 v[72:75], v242 offset:39936
	ds_read_b128 v[8:11], v242 offset:18432
	ds_read_b128 v[68:71], v242 offset:41472
	ds_read_b128 v[4:7], v242 offset:19968
	ds_read_b128 v[64:67], v242 offset:43008
	ds_read_b128 v[0:3], v242 offset:21504
	ds_read_b128 v[60:63], v242 offset:44544
	global_load_dwordx4 v[128:131], v[120:121], off offset:3168
	global_load_dwordx4 v[230:233], v[120:121], off offset:3936
	v_add_co_u32_e32 v132, vcc, s30, v146
	v_addc_co_u32_e32 v133, vcc, 0, v147, vcc
	s_movk_i32 s11, 0xffd0
	global_load_dwordx4 v[226:229], v[132:133], off offset:1376
	global_load_dwordx4 v[222:225], v[132:133], off offset:2912
	s_waitcnt vmcnt(3) lgkmcnt(14)
	v_mul_f64 v[122:123], v[118:119], v[130:131]
	v_mul_f64 v[124:125], v[116:117], v[130:131]
	v_accvgpr_write_b32 a20, v128
	v_fma_f64 v[126:127], v[116:117], v[128:129], -v[122:123]
	v_fmac_f64_e32 v[124:125], v[118:119], v[128:129]
	v_accvgpr_write_b32 a21, v129
	v_accvgpr_write_b32 a22, v130
	;; [unrolled: 1-line block ×3, first 2 shown]
	global_load_dwordx4 v[128:131], v[132:133], off offset:608
	s_waitcnt vmcnt(0)
	v_mul_f64 v[116:117], v[114:115], v[130:131]
	v_fma_f64 v[118:119], v[112:113], v[128:129], -v[116:117]
	v_mul_f64 v[116:117], v[112:113], v[130:131]
	v_accvgpr_write_b32 a24, v128
	v_fmac_f64_e32 v[116:117], v[114:115], v[128:129]
	v_accvgpr_write_b32 a25, v129
	v_accvgpr_write_b32 a26, v130
	;; [unrolled: 1-line block ×3, first 2 shown]
	global_load_dwordx4 v[128:131], v[132:133], off offset:2144
	v_add_f64 v[118:119], v[52:53], -v[118:119]
	v_add_f64 v[120:121], v[54:55], -v[116:117]
	buffer_store_dword v188, off, s[44:47], 0 offset:628 ; 4-byte Folded Spill
	v_fma_f64 v[52:53], v[52:53], 2.0, -v[118:119]
	v_fma_f64 v[54:55], v[54:55], 2.0, -v[120:121]
	s_waitcnt vmcnt(1)
	v_mul_f64 v[112:113], v[110:111], v[130:131]
	v_fma_f64 v[114:115], v[108:109], v[128:129], -v[112:113]
	v_mul_f64 v[112:113], v[108:109], v[130:131]
	v_accvgpr_write_b32 a28, v128
	v_fmac_f64_e32 v[112:113], v[110:111], v[128:129]
	v_accvgpr_write_b32 a29, v129
	v_accvgpr_write_b32 a30, v130
	;; [unrolled: 1-line block ×3, first 2 shown]
	global_load_dwordx4 v[128:131], v[132:133], off offset:3680
	v_add_f64 v[114:115], v[48:49], -v[114:115]
	v_add_f64 v[116:117], v[50:51], -v[112:113]
	v_fma_f64 v[48:49], v[48:49], 2.0, -v[114:115]
	v_fma_f64 v[50:51], v[50:51], 2.0, -v[116:117]
	s_waitcnt vmcnt(0)
	v_mul_f64 v[108:109], v[106:107], v[130:131]
	v_fma_f64 v[110:111], v[104:105], v[128:129], -v[108:109]
	v_mul_f64 v[108:109], v[104:105], v[130:131]
	v_accvgpr_write_b32 a118, v128
	v_fmac_f64_e32 v[108:109], v[106:107], v[128:129]
	v_accvgpr_write_b32 a119, v129
	v_accvgpr_write_b32 a120, v130
	;; [unrolled: 1-line block ×3, first 2 shown]
	v_add_co_u32_e32 v128, vcc, s33, v146
	v_addc_co_u32_e32 v129, vcc, 0, v147, vcc
	global_load_dwordx4 v[206:209], v[128:129], off offset:3424
	global_load_dwordx4 v[134:137], v[128:129], off offset:1120
	;; [unrolled: 1-line block ×3, first 2 shown]
	v_add_co_u32_e32 v122, vcc, s31, v146
	v_addc_co_u32_e32 v123, vcc, 0, v147, vcc
	global_load_dwordx4 v[218:221], v[128:129], off offset:352
	global_load_dwordx4 v[198:201], v[122:123], off offset:864
	v_add_f64 v[110:111], v[44:45], -v[110:111]
	v_add_f64 v[112:113], v[46:47], -v[108:109]
	v_fma_f64 v[44:45], v[44:45], 2.0, -v[110:111]
	v_fma_f64 v[46:47], v[46:47], 2.0, -v[112:113]
	s_waitcnt vmcnt(3)
	v_mul_f64 v[104:105], v[102:103], v[136:137]
	v_fma_f64 v[106:107], v[100:101], v[134:135], -v[104:105]
	v_mul_f64 v[104:105], v[100:101], v[136:137]
	v_accvgpr_write_b32 a32, v134
	v_fmac_f64_e32 v[104:105], v[102:103], v[134:135]
	v_accvgpr_write_b32 a33, v135
	v_accvgpr_write_b32 a34, v136
	;; [unrolled: 1-line block ×3, first 2 shown]
	global_load_dwordx4 v[134:137], v[128:129], off offset:2656
	s_waitcnt vmcnt(1) lgkmcnt(0)
	v_mul_f64 v[132:133], v[60:61], v[200:201]
	v_fmac_f64_e32 v[132:133], v[62:63], v[198:199]
	v_add_f64 v[106:107], v[40:41], -v[106:107]
	v_add_f64 v[108:109], v[42:43], -v[104:105]
	v_fma_f64 v[40:41], v[40:41], 2.0, -v[106:107]
	v_fma_f64 v[42:43], v[42:43], 2.0, -v[108:109]
	s_waitcnt vmcnt(0)
	v_mul_f64 v[100:101], v[98:99], v[136:137]
	v_fma_f64 v[102:103], v[96:97], v[134:135], -v[100:101]
	v_mul_f64 v[100:101], v[96:97], v[136:137]
	v_accvgpr_write_b32 a40, v134
	v_fmac_f64_e32 v[100:101], v[98:99], v[134:135]
	v_accvgpr_write_b32 a41, v135
	v_accvgpr_write_b32 a42, v136
	;; [unrolled: 1-line block ×3, first 2 shown]
	global_load_dwordx4 v[134:137], v[122:123], off offset:96
	v_add_f64 v[102:103], v[36:37], -v[102:103]
	v_add_f64 v[104:105], v[38:39], -v[100:101]
	v_fma_f64 v[36:37], v[36:37], 2.0, -v[102:103]
	v_fma_f64 v[38:39], v[38:39], 2.0, -v[104:105]
	s_waitcnt vmcnt(0)
	v_mul_f64 v[96:97], v[94:95], v[136:137]
	v_fma_f64 v[98:99], v[92:93], v[134:135], -v[96:97]
	v_mul_f64 v[96:97], v[92:93], v[136:137]
	v_add_co_u32_e32 v92, vcc, s11, v188
	v_addc_co_u32_e64 v93, s[40:41], 0, -1, vcc
	v_cmp_gt_u16_e32 vcc, 48, v188
	v_cndmask_b32_e32 v93, v93, v167, vcc
	v_cndmask_b32_e32 v92, v92, v166, vcc
	v_fmac_f64_e32 v[96:97], v[94:95], v[134:135]
	v_lshlrev_b64 v[94:95], 4, v[92:93]
	v_add_co_u32_e32 v93, vcc, s10, v94
	v_addc_co_u32_e32 v95, vcc, v177, v95, vcc
	v_add_co_u32_e32 v94, vcc, s29, v93
	v_accvgpr_write_b32 a36, v134
	v_addc_co_u32_e32 v95, vcc, 0, v95, vcc
	v_accvgpr_write_b32 a37, v135
	v_accvgpr_write_b32 a38, v136
	;; [unrolled: 1-line block ×3, first 2 shown]
	global_load_dwordx4 v[134:137], v[94:95], off offset:3168
	v_add_f64 v[98:99], v[32:33], -v[98:99]
	v_add_f64 v[100:101], v[34:35], -v[96:97]
	v_fma_f64 v[32:33], v[32:33], 2.0, -v[98:99]
	v_fma_f64 v[34:35], v[34:35], 2.0, -v[100:101]
	s_barrier
	v_cmp_lt_u16_e32 vcc, 47, v188
	s_waitcnt vmcnt(0)
	v_mul_f64 v[94:95], v[90:91], v[136:137]
	v_fma_f64 v[94:95], v[88:89], v[134:135], -v[94:95]
	v_mul_f64 v[88:89], v[88:89], v[136:137]
	v_fmac_f64_e32 v[88:89], v[90:91], v[134:135]
	v_mul_f64 v[90:91], v[86:87], v[232:233]
	v_fma_f64 v[90:91], v[84:85], v[230:231], -v[90:91]
	v_mul_f64 v[84:85], v[84:85], v[232:233]
	v_fmac_f64_e32 v[84:85], v[86:87], v[230:231]
	;; [unrolled: 4-line block ×7, first 2 shown]
	v_mul_f64 v[66:67], v[62:63], v[200:201]
	v_fma_f64 v[128:129], v[60:61], v[198:199], -v[66:67]
	v_add_f64 v[60:61], v[56:57], -v[126:127]
	v_add_f64 v[62:63], v[58:59], -v[124:125]
	v_fma_f64 v[56:57], v[56:57], 2.0, -v[60:61]
	v_fma_f64 v[58:59], v[58:59], 2.0, -v[62:63]
	ds_write_b128 v242, v[56:59]
	ds_write_b128 v242, v[60:63] offset:11520
	ds_write_b128 v242, v[52:55] offset:1536
	;; [unrolled: 1-line block ×13, first 2 shown]
	v_mov_b32_e32 v32, 0x5a0
	v_add_f64 v[94:95], v[28:29], -v[94:95]
	v_add_f64 v[96:97], v[30:31], -v[88:89]
	v_add_f64 v[88:89], v[24:25], -v[90:91]
	v_add_f64 v[90:91], v[26:27], -v[84:85]
	v_add_f64 v[84:85], v[20:21], -v[86:87]
	v_add_f64 v[86:87], v[22:23], -v[80:81]
	v_add_f64 v[80:81], v[16:17], -v[82:83]
	v_add_f64 v[82:83], v[18:19], -v[76:77]
	v_add_f64 v[76:77], v[12:13], -v[78:79]
	v_add_f64 v[78:79], v[14:15], -v[72:73]
	v_add_f64 v[66:67], v[8:9], -v[74:75]
	v_add_f64 v[68:69], v[10:11], -v[68:69]
	v_add_f64 v[70:71], v[4:5], -v[70:71]
	v_add_f64 v[72:73], v[6:7], -v[64:65]
	v_add_f64 v[124:125], v[0:1], -v[128:129]
	v_add_f64 v[126:127], v[2:3], -v[132:133]
	v_cndmask_b32_e32 v32, 0, v32, vcc
	v_fma_f64 v[28:29], v[28:29], 2.0, -v[94:95]
	v_fma_f64 v[30:31], v[30:31], 2.0, -v[96:97]
	;; [unrolled: 1-line block ×16, first 2 shown]
	v_add_lshl_u32 v32, v92, v32, 4
	ds_write_b128 v32, v[28:31]
	ds_write_b128 v32, v[94:97] offset:11520
	v_accvgpr_write_b32 a80, v32
	ds_write_b128 v242, v[24:27] offset:23808
	ds_write_b128 v242, v[88:91] offset:35328
	ds_write_b128 v242, v[20:23] offset:25344
	ds_write_b128 v242, v[84:87] offset:36864
	ds_write_b128 v242, v[16:19] offset:26880
	ds_write_b128 v242, v[80:83] offset:38400
	ds_write_b128 v242, v[12:15] offset:28416
	ds_write_b128 v242, v[76:79] offset:39936
	ds_write_b128 v242, v[8:11] offset:29952
	ds_write_b128 v242, v[66:69] offset:41472
	ds_write_b128 v242, v[4:7] offset:31488
	ds_write_b128 v242, v[70:73] offset:43008
	ds_write_b128 v242, v[0:3] offset:33024
	ds_write_b128 v242, v[124:127] offset:44544
	s_waitcnt lgkmcnt(0)
	s_barrier
	ds_read_b128 v[56:59], v242
	ds_read_b128 v[116:119], v242 offset:23040
	ds_read_b128 v[52:55], v242 offset:1536
	;; [unrolled: 1-line block ×29, first 2 shown]
	global_load_dwordx4 v[210:213], v[122:123], off offset:2400
	global_load_dwordx4 v[202:205], v[122:123], off offset:3936
	v_accvgpr_write_b32 a16, v134
	v_accvgpr_write_b32 a17, v135
	;; [unrolled: 1-line block ×4, first 2 shown]
	s_waitcnt vmcnt(1) lgkmcnt(14)
	v_mul_f64 v[120:121], v[118:119], v[212:213]
	v_fma_f64 v[144:145], v[116:117], v[210:211], -v[120:121]
	v_mul_f64 v[116:117], v[116:117], v[212:213]
	v_fmac_f64_e32 v[116:117], v[118:119], v[210:211]
	s_waitcnt vmcnt(0)
	v_mul_f64 v[118:119], v[114:115], v[204:205]
	v_fma_f64 v[140:141], v[112:113], v[202:203], -v[118:119]
	v_mul_f64 v[118:119], v[112:113], v[204:205]
	v_fmac_f64_e32 v[118:119], v[114:115], v[202:203]
	v_add_co_u32_e32 v114, vcc, s34, v146
	v_addc_co_u32_e32 v115, vcc, 0, v147, vcc
	global_load_dwordx4 v[194:197], v[114:115], off offset:1376
	v_add_co_u32_e32 v124, vcc, s37, v146
	global_load_dwordx4 v[190:193], v[114:115], off offset:2912
	v_addc_co_u32_e32 v125, vcc, 0, v147, vcc
	global_load_dwordx4 v[186:189], v[124:125], off offset:352
	global_load_dwordx4 v[182:185], v[124:125], off offset:1888
	global_load_dwordx4 v[178:181], v[124:125], off offset:3424
	s_waitcnt vmcnt(4)
	v_mul_f64 v[112:113], v[110:111], v[196:197]
	v_fma_f64 v[142:143], v[108:109], v[194:195], -v[112:113]
	v_mul_f64 v[108:109], v[108:109], v[196:197]
	v_fmac_f64_e32 v[108:109], v[110:111], v[194:195]
	s_waitcnt vmcnt(3)
	v_mul_f64 v[110:111], v[106:107], v[192:193]
	v_fma_f64 v[122:123], v[104:105], v[190:191], -v[110:111]
	v_mul_f64 v[110:111], v[104:105], v[192:193]
	s_waitcnt vmcnt(2)
	v_mul_f64 v[104:105], v[102:103], v[188:189]
	v_fma_f64 v[104:105], v[100:101], v[186:187], -v[104:105]
	v_mul_f64 v[100:101], v[100:101], v[188:189]
	v_fmac_f64_e32 v[100:101], v[102:103], v[186:187]
	s_waitcnt vmcnt(1)
	v_mul_f64 v[102:103], v[98:99], v[184:185]
	v_fmac_f64_e32 v[110:111], v[106:107], v[190:191]
	v_fma_f64 v[106:107], v[96:97], v[182:183], -v[102:103]
	v_mul_f64 v[102:103], v[96:97], v[184:185]
	s_waitcnt vmcnt(0)
	v_mul_f64 v[96:97], v[94:95], v[180:181]
	v_fma_f64 v[96:97], v[92:93], v[178:179], -v[96:97]
	v_mul_f64 v[92:93], v[92:93], v[180:181]
	v_fmac_f64_e32 v[92:93], v[94:95], v[178:179]
	v_add_co_u32_e32 v94, vcc, s35, v146
	v_addc_co_u32_e32 v95, vcc, 0, v147, vcc
	global_load_dwordx4 v[174:177], v[94:95], off offset:864
	global_load_dwordx4 v[170:173], v[94:95], off offset:2400
	;; [unrolled: 1-line block ×3, first 2 shown]
	v_fmac_f64_e32 v[102:103], v[98:99], v[182:183]
	s_waitcnt vmcnt(2)
	v_mul_f64 v[98:99], v[90:91], v[176:177]
	v_fma_f64 v[98:99], v[88:89], v[174:175], -v[98:99]
	v_mul_f64 v[124:125], v[88:89], v[176:177]
	s_waitcnt vmcnt(1) lgkmcnt(12)
	v_mul_f64 v[88:89], v[86:87], v[172:173]
	v_fma_f64 v[126:127], v[84:85], v[170:171], -v[88:89]
	v_mul_f64 v[84:85], v[84:85], v[172:173]
	v_fmac_f64_e32 v[84:85], v[86:87], v[170:171]
	s_waitcnt vmcnt(0) lgkmcnt(10)
	v_mul_f64 v[86:87], v[82:83], v[168:169]
	v_fma_f64 v[128:129], v[80:81], v[166:167], -v[86:87]
	v_mul_f64 v[132:133], v[80:81], v[168:169]
	v_add_co_u32_e32 v80, vcc, s36, v146
	v_addc_co_u32_e32 v81, vcc, 0, v147, vcc
	global_load_dwordx4 v[162:165], v[80:81], off offset:1376
	global_load_dwordx4 v[158:161], v[80:81], off offset:2912
	v_fmac_f64_e32 v[132:133], v[82:83], v[166:167]
	v_fmac_f64_e32 v[124:125], v[90:91], v[174:175]
	v_add_f64 v[90:91], v[28:29], -v[98:99]
	v_add_f64 v[98:99], v[20:21], -v[128:129]
	;; [unrolled: 1-line block ×8, first 2 shown]
	v_fma_f64 v[20:21], v[20:21], 2.0, -v[98:99]
	v_fma_f64 v[36:37], v[36:37], 2.0, -v[80:81]
	;; [unrolled: 1-line block ×8, first 2 shown]
	s_waitcnt vmcnt(1) lgkmcnt(8)
	v_mul_f64 v[82:83], v[78:79], v[164:165]
	v_fma_f64 v[134:135], v[76:77], v[162:163], -v[82:83]
	v_mul_f64 v[136:137], v[76:77], v[164:165]
	s_waitcnt vmcnt(0) lgkmcnt(6)
	v_mul_f64 v[76:77], v[74:75], v[160:161]
	v_fma_f64 v[138:139], v[72:73], v[158:159], -v[76:77]
	v_mul_f64 v[130:131], v[72:73], v[160:161]
	v_add_co_u32_e32 v72, vcc, s38, v146
	v_addc_co_u32_e32 v73, vcc, 0, v147, vcc
	global_load_dwordx4 v[154:157], v[72:73], off offset:352
	global_load_dwordx4 v[150:153], v[72:73], off offset:1888
	;; [unrolled: 1-line block ×3, first 2 shown]
	v_fmac_f64_e32 v[130:131], v[74:75], v[158:159]
	v_fmac_f64_e32 v[136:137], v[78:79], v[162:163]
	v_add_f64 v[72:73], v[44:45], -v[122:123]
	v_add_f64 v[76:77], v[40:41], -v[104:105]
	;; [unrolled: 1-line block ×8, first 2 shown]
	v_fma_f64 v[44:45], v[44:45], 2.0, -v[72:73]
	v_fma_f64 v[40:41], v[40:41], 2.0, -v[76:77]
	;; [unrolled: 1-line block ×8, first 2 shown]
	s_waitcnt vmcnt(2) lgkmcnt(4)
	v_mul_f64 v[74:75], v[70:71], v[156:157]
	v_fma_f64 v[112:113], v[68:69], v[154:155], -v[74:75]
	v_mul_f64 v[238:239], v[68:69], v[156:157]
	s_waitcnt vmcnt(1) lgkmcnt(2)
	v_mul_f64 v[68:69], v[66:67], v[152:153]
	v_fma_f64 v[114:115], v[64:65], v[150:151], -v[68:69]
	v_mul_f64 v[236:237], v[64:65], v[152:153]
	s_waitcnt vmcnt(0) lgkmcnt(0)
	v_mul_f64 v[64:65], v[62:63], v[148:149]
	v_mul_f64 v[234:235], v[60:61], v[148:149]
	v_fmac_f64_e32 v[238:239], v[70:71], v[154:155]
	v_fmac_f64_e32 v[236:237], v[66:67], v[150:151]
	v_fma_f64 v[120:121], v[60:61], v[146:147], -v[64:65]
	v_fmac_f64_e32 v[234:235], v[62:63], v[146:147]
	v_add_f64 v[60:61], v[56:57], -v[144:145]
	v_add_f64 v[62:63], v[58:59], -v[116:117]
	;; [unrolled: 1-line block ×3, first 2 shown]
	v_fma_f64 v[56:57], v[56:57], 2.0, -v[60:61]
	v_fma_f64 v[58:59], v[58:59], 2.0, -v[62:63]
	v_add_f64 v[64:65], v[52:53], -v[140:141]
	v_add_f64 v[66:67], v[54:55], -v[118:119]
	;; [unrolled: 1-line block ×9, first 2 shown]
	v_fma_f64 v[4:5], v[4:5], 2.0, -v[114:115]
	v_add_f64 v[118:119], v[0:1], -v[120:121]
	v_add_f64 v[120:121], v[2:3], -v[234:235]
	v_fma_f64 v[52:53], v[52:53], 2.0, -v[64:65]
	v_fma_f64 v[54:55], v[54:55], 2.0, -v[66:67]
	;; [unrolled: 1-line block ×11, first 2 shown]
	ds_write_b128 v242, v[56:59]
	ds_write_b128 v242, v[60:63] offset:23040
	ds_write_b128 v242, v[52:55] offset:1536
	ds_write_b128 v242, v[64:67] offset:24576
	ds_write_b128 v242, v[48:51] offset:3072
	ds_write_b128 v242, v[68:71] offset:26112
	ds_write_b128 v242, v[44:47] offset:4608
	ds_write_b128 v242, v[72:75] offset:27648
	ds_write_b128 v242, v[40:43] offset:6144
	ds_write_b128 v242, v[76:79] offset:29184
	ds_write_b128 v242, v[36:39] offset:7680
	ds_write_b128 v242, v[80:83] offset:30720
	ds_write_b128 v242, v[32:35] offset:9216
	ds_write_b128 v242, v[86:89] offset:32256
	ds_write_b128 v242, v[28:31] offset:10752
	ds_write_b128 v242, v[90:93] offset:33792
	ds_write_b128 v242, v[24:27] offset:12288
	ds_write_b128 v242, v[94:97] offset:35328
	ds_write_b128 v242, v[20:23] offset:13824
	ds_write_b128 v242, v[98:101] offset:36864
	ds_write_b128 v242, v[16:19] offset:15360
	ds_write_b128 v242, v[102:105] offset:38400
	ds_write_b128 v242, v[12:15] offset:16896
	ds_write_b128 v242, v[106:109] offset:39936
	ds_write_b128 v242, v[8:11] offset:18432
	ds_write_b128 v242, v[110:113] offset:41472
	ds_write_b128 v242, v[4:7] offset:19968
	ds_write_b128 v242, v[114:117] offset:43008
	ds_write_b128 v242, v[0:3] offset:21504
	ds_write_b128 v242, v[118:121] offset:44544
	v_add_co_u32_e32 v20, vcc, s16, v242
	v_mov_b32_e32 v4, s17
	s_waitcnt lgkmcnt(0)
	s_barrier
	v_addc_co_u32_e32 v21, vcc, 0, v4, vcc
	global_load_dwordx4 v[4:7], v242, s[16:17]
	ds_read_b128 v[0:3], v242
	s_waitcnt vmcnt(0) lgkmcnt(0)
	v_mul_f64 v[8:9], v[2:3], v[6:7]
	v_mul_f64 v[10:11], v[0:1], v[6:7]
	v_fma_f64 v[8:9], v[0:1], v[4:5], -v[8:9]
	v_fmac_f64_e32 v[10:11], v[2:3], v[4:5]
	ds_write_b128 v242, v[8:11]
	v_add_co_u32_e32 v10, vcc, s28, v20
	v_addc_co_u32_e32 v11, vcc, 0, v21, vcc
	global_load_dwordx4 v[4:7], v[10:11], off offset:512
	ds_read_b128 v[0:3], v242 offset:4608
	s_waitcnt vmcnt(0) lgkmcnt(0)
	v_mul_f64 v[8:9], v[2:3], v[6:7]
	v_mul_f64 v[14:15], v[0:1], v[6:7]
	v_fma_f64 v[12:13], v[0:1], v[4:5], -v[8:9]
	v_fmac_f64_e32 v[14:15], v[2:3], v[4:5]
	ds_write_b128 v242, v[12:15] offset:4608
	v_add_co_u32_e32 v12, vcc, s29, v20
	v_addc_co_u32_e32 v13, vcc, 0, v21, vcc
	global_load_dwordx4 v[4:7], v[12:13], off offset:1024
	ds_read_b128 v[0:3], v242 offset:9216
	s_waitcnt vmcnt(0) lgkmcnt(0)
	v_mul_f64 v[8:9], v[2:3], v[6:7]
	v_mul_f64 v[16:17], v[0:1], v[6:7]
	v_fma_f64 v[14:15], v[0:1], v[4:5], -v[8:9]
	v_fmac_f64_e32 v[16:17], v[2:3], v[4:5]
	ds_write_b128 v242, v[14:17] offset:9216
	v_add_co_u32_e32 v14, vcc, s30, v20
	v_addc_co_u32_e32 v15, vcc, 0, v21, vcc
	global_load_dwordx4 v[4:7], v[14:15], off offset:1536
	ds_read_b128 v[0:3], v242 offset:13824
	s_waitcnt vmcnt(0) lgkmcnt(0)
	v_mul_f64 v[8:9], v[2:3], v[6:7]
	v_mul_f64 v[18:19], v[0:1], v[6:7]
	v_fma_f64 v[16:17], v[0:1], v[4:5], -v[8:9]
	v_fmac_f64_e32 v[18:19], v[2:3], v[4:5]
	global_load_dwordx4 v[4:7], v244, s[16:17]
	ds_read_b128 v[0:3], v242 offset:18432
	ds_write_b128 v242, v[16:19] offset:13824
	s_waitcnt vmcnt(0) lgkmcnt(1)
	v_mul_f64 v[8:9], v[2:3], v[6:7]
	v_fma_f64 v[16:17], v[0:1], v[4:5], -v[8:9]
	v_add_co_u32_e32 v8, vcc, s31, v20
	v_mul_f64 v[18:19], v[0:1], v[6:7]
	v_addc_co_u32_e32 v9, vcc, 0, v21, vcc
	v_fmac_f64_e32 v[18:19], v[2:3], v[4:5]
	global_load_dwordx4 v[4:7], v[8:9], off offset:2560
	ds_read_b128 v[0:3], v242 offset:23040
	ds_write_b128 v242, v[16:19] offset:18432
	s_waitcnt vmcnt(0) lgkmcnt(1)
	v_mul_f64 v[16:17], v[2:3], v[6:7]
	v_mul_f64 v[18:19], v[0:1], v[6:7]
	v_add_co_u32_e32 v6, vcc, s34, v20
	v_fma_f64 v[16:17], v[0:1], v[4:5], -v[16:17]
	v_fmac_f64_e32 v[18:19], v[2:3], v[4:5]
	v_addc_co_u32_e32 v7, vcc, 0, v21, vcc
	ds_write_b128 v242, v[16:19] offset:23040
	global_load_dwordx4 v[16:19], v[6:7], off offset:3072
	ds_read_b128 v[0:3], v242 offset:27648
	s_waitcnt vmcnt(0) lgkmcnt(0)
	v_mul_f64 v[4:5], v[2:3], v[18:19]
	v_mul_f64 v[24:25], v[0:1], v[18:19]
	v_add_co_u32_e32 v18, vcc, s37, v20
	v_fma_f64 v[22:23], v[0:1], v[16:17], -v[4:5]
	v_fmac_f64_e32 v[24:25], v[2:3], v[16:17]
	v_addc_co_u32_e32 v19, vcc, 0, v21, vcc
	ds_write_b128 v242, v[22:25] offset:27648
	global_load_dwordx4 v[22:25], v[18:19], off offset:3584
	ds_read_b128 v[0:3], v242 offset:32256
	s_waitcnt vmcnt(0) lgkmcnt(0)
	v_mul_f64 v[4:5], v[2:3], v[24:25]
	v_mul_f64 v[28:29], v[0:1], v[24:25]
	v_fma_f64 v[26:27], v[0:1], v[22:23], -v[4:5]
	v_fmac_f64_e32 v[28:29], v[2:3], v[22:23]
	global_load_dwordx4 v[22:25], v247, s[16:17]
	ds_read_b128 v[0:3], v242 offset:36864
	ds_write_b128 v242, v[26:29] offset:32256
	s_waitcnt vmcnt(0) lgkmcnt(1)
	v_mul_f64 v[4:5], v[2:3], v[24:25]
	v_fma_f64 v[26:27], v[0:1], v[22:23], -v[4:5]
	v_add_co_u32_e32 v4, vcc, s38, v20
	v_mul_f64 v[28:29], v[0:1], v[24:25]
	v_addc_co_u32_e32 v5, vcc, 0, v21, vcc
	v_fmac_f64_e32 v[28:29], v[2:3], v[22:23]
	global_load_dwordx4 v[22:25], v[4:5], off offset:512
	ds_read_b128 v[0:3], v242 offset:41472
	ds_write_b128 v242, v[26:29] offset:36864
	s_waitcnt vmcnt(0) lgkmcnt(1)
	v_mul_f64 v[16:17], v[2:3], v[24:25]
	v_mul_f64 v[28:29], v[0:1], v[24:25]
	v_fma_f64 v[26:27], v[0:1], v[22:23], -v[16:17]
	v_fmac_f64_e32 v[28:29], v[2:3], v[22:23]
	ds_read_b128 v[0:3], v242 offset:1536
	global_load_dwordx4 v[22:25], v242, s[16:17] offset:1536
	ds_write_b128 v242, v[26:29] offset:41472
	s_waitcnt vmcnt(0) lgkmcnt(1)
	v_mul_f64 v[16:17], v[2:3], v[24:25]
	v_fma_f64 v[26:27], v[0:1], v[22:23], -v[16:17]
	buffer_load_dword v16, off, s[44:47], 0 offset:208 ; 4-byte Folded Reload
	v_mul_f64 v[28:29], v[0:1], v[24:25]
	v_fmac_f64_e32 v[28:29], v[2:3], v[22:23]
	ds_read_b128 v[0:3], v242 offset:6144
	ds_write_b128 v242, v[26:29] offset:1536
	s_waitcnt vmcnt(0)
	global_load_dwordx4 v[22:25], v16, s[16:17]
	s_waitcnt vmcnt(0) lgkmcnt(1)
	v_mul_f64 v[16:17], v[2:3], v[24:25]
	v_mul_f64 v[28:29], v[0:1], v[24:25]
	v_fma_f64 v[26:27], v[0:1], v[22:23], -v[16:17]
	v_fmac_f64_e32 v[28:29], v[2:3], v[22:23]
	global_load_dwordx4 v[22:25], v[12:13], off offset:2560
	ds_read_b128 v[0:3], v242 offset:10752
	ds_write_b128 v242, v[26:29] offset:6144
	s_waitcnt vmcnt(0) lgkmcnt(1)
	v_mul_f64 v[12:13], v[2:3], v[24:25]
	v_fma_f64 v[26:27], v[0:1], v[22:23], -v[12:13]
	global_load_dwordx4 v[12:15], v[14:15], off offset:3072
	v_mul_f64 v[28:29], v[0:1], v[24:25]
	v_fmac_f64_e32 v[28:29], v[2:3], v[22:23]
	ds_read_b128 v[0:3], v242 offset:15360
	ds_write_b128 v242, v[26:29] offset:10752
	s_waitcnt vmcnt(0) lgkmcnt(1)
	v_mul_f64 v[16:17], v[2:3], v[14:15]
	v_fma_f64 v[22:23], v[0:1], v[12:13], -v[16:17]
	v_add_co_u32_e32 v16, vcc, s33, v20
	v_mul_f64 v[24:25], v[0:1], v[14:15]
	v_addc_co_u32_e32 v17, vcc, 0, v21, vcc
	v_fmac_f64_e32 v[24:25], v[2:3], v[12:13]
	global_load_dwordx4 v[12:15], v[16:17], off offset:3584
	ds_read_b128 v[0:3], v242 offset:19968
	ds_write_b128 v242, v[22:25] offset:15360
	s_waitcnt vmcnt(0) lgkmcnt(1)
	v_mul_f64 v[22:23], v[2:3], v[14:15]
	v_mul_f64 v[24:25], v[0:1], v[14:15]
	v_fma_f64 v[22:23], v[0:1], v[12:13], -v[22:23]
	v_fmac_f64_e32 v[24:25], v[2:3], v[12:13]
	global_load_dwordx4 v[12:15], v245, s[16:17]
	ds_read_b128 v[0:3], v242 offset:24576
	ds_write_b128 v242, v[22:25] offset:19968
	s_waitcnt vmcnt(0) lgkmcnt(1)
	v_mul_f64 v[22:23], v[2:3], v[14:15]
	v_mul_f64 v[24:25], v[0:1], v[14:15]
	v_fma_f64 v[22:23], v[0:1], v[12:13], -v[22:23]
	v_fmac_f64_e32 v[24:25], v[2:3], v[12:13]
	global_load_dwordx4 v[12:15], v[18:19], off offset:512
	ds_read_b128 v[0:3], v242 offset:29184
	ds_write_b128 v242, v[22:25] offset:24576
	s_waitcnt vmcnt(0) lgkmcnt(1)
	v_mul_f64 v[18:19], v[2:3], v[14:15]
	v_mul_f64 v[24:25], v[0:1], v[14:15]
	v_fma_f64 v[22:23], v[0:1], v[12:13], -v[18:19]
	v_fmac_f64_e32 v[24:25], v[2:3], v[12:13]
	v_add_co_u32_e32 v12, vcc, s35, v20
	v_addc_co_u32_e32 v13, vcc, 0, v21, vcc
	ds_write_b128 v242, v[22:25] offset:29184
	global_load_dwordx4 v[22:25], v[12:13], off offset:1024
	ds_read_b128 v[0:3], v242 offset:33792
	s_waitcnt vmcnt(0) lgkmcnt(0)
	v_mul_f64 v[14:15], v[2:3], v[24:25]
	v_fma_f64 v[26:27], v[0:1], v[22:23], -v[14:15]
	v_add_co_u32_e32 v14, vcc, s36, v20
	v_addc_co_u32_e32 v15, vcc, 0, v21, vcc
	global_load_dwordx4 v[18:21], v[14:15], off offset:1536
	v_mul_f64 v[28:29], v[0:1], v[24:25]
	v_fmac_f64_e32 v[28:29], v[2:3], v[22:23]
	ds_read_b128 v[0:3], v242 offset:38400
	ds_write_b128 v242, v[26:29] offset:33792
	s_waitcnt vmcnt(0) lgkmcnt(1)
	v_mul_f64 v[22:23], v[2:3], v[20:21]
	v_mul_f64 v[24:25], v[0:1], v[20:21]
	v_fma_f64 v[22:23], v[0:1], v[18:19], -v[22:23]
	v_fmac_f64_e32 v[24:25], v[2:3], v[18:19]
	global_load_dwordx4 v[18:21], v246, s[16:17]
	ds_read_b128 v[0:3], v242 offset:43008
	ds_write_b128 v242, v[22:25] offset:38400
	s_waitcnt vmcnt(0) lgkmcnt(1)
	v_mul_f64 v[22:23], v[2:3], v[20:21]
	v_mul_f64 v[24:25], v[0:1], v[20:21]
	v_fma_f64 v[22:23], v[0:1], v[18:19], -v[22:23]
	v_fmac_f64_e32 v[24:25], v[2:3], v[18:19]
	ds_read_b128 v[0:3], v242 offset:3072
	global_load_dwordx4 v[18:21], v242, s[16:17] offset:3072
	ds_write_b128 v242, v[22:25] offset:43008
	s_waitcnt vmcnt(0) lgkmcnt(1)
	v_mul_f64 v[22:23], v[2:3], v[20:21]
	v_mul_f64 v[24:25], v[0:1], v[20:21]
	v_fma_f64 v[22:23], v[0:1], v[18:19], -v[22:23]
	v_fmac_f64_e32 v[24:25], v[2:3], v[18:19]
	global_load_dwordx4 v[18:21], v[10:11], off offset:3584
	ds_read_b128 v[0:3], v242 offset:7680
	ds_write_b128 v242, v[22:25] offset:3072
	s_waitcnt vmcnt(0) lgkmcnt(1)
	v_mul_f64 v[10:11], v[2:3], v[20:21]
	v_mul_f64 v[24:25], v[0:1], v[20:21]
	v_fma_f64 v[22:23], v[0:1], v[18:19], -v[10:11]
	v_fmac_f64_e32 v[24:25], v[2:3], v[18:19]
	global_load_dwordx4 v[18:21], v241, s[16:17]
	ds_read_b128 v[0:3], v242 offset:12288
	ds_write_b128 v242, v[22:25] offset:7680
	s_waitcnt vmcnt(0) lgkmcnt(1)
	v_mul_f64 v[10:11], v[2:3], v[20:21]
	v_mul_f64 v[24:25], v[0:1], v[20:21]
	v_fma_f64 v[22:23], v[0:1], v[18:19], -v[10:11]
	v_fmac_f64_e32 v[24:25], v[2:3], v[18:19]
	global_load_dwordx4 v[16:19], v[16:17], off offset:512
	ds_read_b128 v[0:3], v242 offset:16896
	ds_write_b128 v242, v[22:25] offset:12288
	s_waitcnt vmcnt(0) lgkmcnt(1)
	v_mul_f64 v[10:11], v[2:3], v[18:19]
	v_fma_f64 v[20:21], v[0:1], v[16:17], -v[10:11]
	global_load_dwordx4 v[8:11], v[8:9], off offset:1024
	v_mul_f64 v[22:23], v[0:1], v[18:19]
	v_fmac_f64_e32 v[22:23], v[2:3], v[16:17]
	ds_read_b128 v[0:3], v242 offset:21504
	ds_write_b128 v242, v[20:23] offset:16896
	s_waitcnt vmcnt(0) lgkmcnt(1)
	v_mul_f64 v[16:17], v[2:3], v[10:11]
	v_mul_f64 v[18:19], v[0:1], v[10:11]
	v_fma_f64 v[16:17], v[0:1], v[8:9], -v[16:17]
	v_fmac_f64_e32 v[18:19], v[2:3], v[8:9]
	global_load_dwordx4 v[6:9], v[6:7], off offset:1536
	ds_read_b128 v[0:3], v242 offset:26112
	ds_write_b128 v242, v[16:19] offset:21504
	s_waitcnt vmcnt(0) lgkmcnt(1)
	v_mul_f64 v[10:11], v[2:3], v[8:9]
	v_mul_f64 v[18:19], v[0:1], v[8:9]
	v_fma_f64 v[16:17], v[0:1], v[6:7], -v[10:11]
	v_fmac_f64_e32 v[18:19], v[2:3], v[6:7]
	global_load_dwordx4 v[6:9], v240, s[16:17]
	ds_read_b128 v[0:3], v242 offset:30720
	ds_write_b128 v242, v[16:19] offset:26112
	s_waitcnt vmcnt(0) lgkmcnt(1)
	v_mul_f64 v[10:11], v[2:3], v[8:9]
	v_mul_f64 v[18:19], v[0:1], v[8:9]
	v_fma_f64 v[16:17], v[0:1], v[6:7], -v[10:11]
	v_fmac_f64_e32 v[18:19], v[2:3], v[6:7]
	global_load_dwordx4 v[6:9], v[12:13], off offset:2560
	ds_read_b128 v[0:3], v242 offset:35328
	ds_write_b128 v242, v[16:19] offset:30720
	s_waitcnt vmcnt(0) lgkmcnt(1)
	v_mul_f64 v[10:11], v[2:3], v[8:9]
	v_mul_f64 v[12:13], v[0:1], v[8:9]
	v_fma_f64 v[10:11], v[0:1], v[6:7], -v[10:11]
	v_fmac_f64_e32 v[12:13], v[2:3], v[6:7]
	global_load_dwordx4 v[6:9], v[14:15], off offset:3072
	;; [unrolled: 8-line block ×3, first 2 shown]
	ds_read_b128 v[0:3], v242 offset:44544
	ds_write_b128 v242, v[10:13] offset:39936
	s_waitcnt vmcnt(0) lgkmcnt(1)
	v_mul_f64 v[8:9], v[2:3], v[6:7]
	v_mul_f64 v[10:11], v[0:1], v[6:7]
	v_fma_f64 v[8:9], v[0:1], v[4:5], -v[8:9]
	v_fmac_f64_e32 v[10:11], v[2:3], v[4:5]
	ds_write_b128 v242, v[8:11] offset:44544
	s_waitcnt lgkmcnt(0)
	s_barrier
	ds_read_b128 v[64:67], v242
	ds_read_b128 v[84:87], v242 offset:4608
	ds_read_b128 v[118:121], v242 offset:9216
	;; [unrolled: 1-line block ×29, first 2 shown]
	s_waitcnt lgkmcnt(14)
	v_add_f64 v[16:17], v[64:65], v[118:119]
	v_add_f64 v[16:17], v[16:17], v[122:123]
	v_add_f64 v[16:17], v[16:17], v[126:127]
	v_add_f64 v[112:113], v[16:17], v[130:131]
	v_add_f64 v[16:17], v[122:123], v[126:127]
	v_fma_f64 v[16:17], -0.5, v[16:17], v[64:65]
	v_add_f64 v[32:33], v[120:121], -v[132:133]
	v_fma_f64 v[38:39], s[8:9], v[32:33], v[16:17]
	v_add_f64 v[40:41], v[124:125], -v[128:129]
	v_add_f64 v[30:31], v[118:119], -v[122:123]
	;; [unrolled: 1-line block ×3, first 2 shown]
	v_fmac_f64_e32 v[16:17], s[4:5], v[32:33]
	v_fmac_f64_e32 v[38:39], s[14:15], v[40:41]
	v_add_f64 v[30:31], v[30:31], v[62:63]
	v_fmac_f64_e32 v[16:17], s[2:3], v[40:41]
	v_fmac_f64_e32 v[38:39], s[6:7], v[30:31]
	;; [unrolled: 1-line block ×3, first 2 shown]
	v_add_f64 v[30:31], v[118:119], v[130:131]
	v_fmac_f64_e32 v[64:65], -0.5, v[30:31]
	v_fma_f64 v[30:31], s[4:5], v[40:41], v[64:65]
	v_fmac_f64_e32 v[64:65], s[8:9], v[40:41]
	v_fmac_f64_e32 v[30:31], s[14:15], v[32:33]
	;; [unrolled: 1-line block ×3, first 2 shown]
	v_add_f64 v[32:33], v[66:67], v[120:121]
	v_add_f64 v[32:33], v[32:33], v[124:125]
	v_add_f64 v[62:63], v[122:123], -v[118:119]
	v_add_f64 v[114:115], v[126:127], -v[130:131]
	v_add_f64 v[32:33], v[32:33], v[128:129]
	v_add_f64 v[62:63], v[62:63], v[114:115]
	;; [unrolled: 1-line block ×4, first 2 shown]
	v_fmac_f64_e32 v[30:31], s[6:7], v[62:63]
	v_fmac_f64_e32 v[64:65], s[6:7], v[62:63]
	v_fma_f64 v[62:63], -0.5, v[32:33], v[66:67]
	v_add_f64 v[32:33], v[118:119], -v[130:131]
	v_fma_f64 v[40:41], s[4:5], v[32:33], v[62:63]
	v_add_f64 v[116:117], v[122:123], -v[126:127]
	v_add_f64 v[118:119], v[120:121], -v[124:125]
	;; [unrolled: 1-line block ×3, first 2 shown]
	v_fmac_f64_e32 v[62:63], s[8:9], v[32:33]
	v_fmac_f64_e32 v[40:41], s[2:3], v[116:117]
	v_add_f64 v[118:119], v[118:119], v[122:123]
	v_fmac_f64_e32 v[62:63], s[14:15], v[116:117]
	v_fmac_f64_e32 v[40:41], s[6:7], v[118:119]
	;; [unrolled: 1-line block ×3, first 2 shown]
	v_add_f64 v[118:119], v[120:121], v[132:133]
	v_fmac_f64_e32 v[66:67], -0.5, v[118:119]
	v_fma_f64 v[118:119], s[8:9], v[116:117], v[66:67]
	v_add_f64 v[120:121], v[124:125], -v[120:121]
	v_add_f64 v[122:123], v[128:129], -v[132:133]
	v_fmac_f64_e32 v[66:67], s[4:5], v[116:117]
	v_add_f64 v[116:117], v[92:93], v[96:97]
	v_fmac_f64_e32 v[118:119], s[2:3], v[32:33]
	v_add_f64 v[120:121], v[120:121], v[122:123]
	v_fmac_f64_e32 v[66:67], s[14:15], v[32:33]
	v_fma_f64 v[122:123], -0.5, v[116:117], v[84:85]
	v_add_f64 v[116:117], v[90:91], -v[102:103]
	v_fmac_f64_e32 v[118:119], s[6:7], v[120:121]
	v_fmac_f64_e32 v[66:67], s[6:7], v[120:121]
	v_fma_f64 v[126:127], s[8:9], v[116:117], v[122:123]
	v_add_f64 v[120:121], v[94:95], -v[98:99]
	v_add_f64 v[124:125], v[88:89], -v[92:93]
	;; [unrolled: 1-line block ×3, first 2 shown]
	v_fmac_f64_e32 v[122:123], s[4:5], v[116:117]
	v_fmac_f64_e32 v[126:127], s[14:15], v[120:121]
	v_add_f64 v[124:125], v[124:125], v[128:129]
	v_fmac_f64_e32 v[122:123], s[2:3], v[120:121]
	v_fmac_f64_e32 v[126:127], s[6:7], v[124:125]
	v_fmac_f64_e32 v[122:123], s[6:7], v[124:125]
	v_add_f64 v[124:125], v[88:89], v[100:101]
	v_add_f64 v[32:33], v[84:85], v[88:89]
	v_fmac_f64_e32 v[84:85], -0.5, v[124:125]
	v_fma_f64 v[138:139], s[4:5], v[120:121], v[84:85]
	v_fmac_f64_e32 v[84:85], s[8:9], v[120:121]
	v_fmac_f64_e32 v[138:139], s[14:15], v[116:117]
	;; [unrolled: 1-line block ×3, first 2 shown]
	v_add_f64 v[116:117], v[86:87], v[90:91]
	v_add_f64 v[116:117], v[116:117], v[94:95]
	;; [unrolled: 1-line block ×7, first 2 shown]
	v_add_f64 v[124:125], v[92:93], -v[88:89]
	v_fma_f64 v[116:117], -0.5, v[116:117], v[86:87]
	v_add_f64 v[88:89], v[88:89], -v[100:101]
	v_add_f64 v[32:33], v[32:33], v[100:101]
	v_add_f64 v[128:129], v[96:97], -v[100:101]
	v_fma_f64 v[100:101], s[4:5], v[88:89], v[116:117]
	v_add_f64 v[92:93], v[92:93], -v[96:97]
	v_add_f64 v[96:97], v[90:91], -v[94:95]
	;; [unrolled: 1-line block ×3, first 2 shown]
	v_fmac_f64_e32 v[116:117], s[8:9], v[88:89]
	v_fmac_f64_e32 v[100:101], s[2:3], v[92:93]
	v_add_f64 v[96:97], v[96:97], v[120:121]
	v_fmac_f64_e32 v[116:117], s[14:15], v[92:93]
	v_fmac_f64_e32 v[100:101], s[6:7], v[96:97]
	;; [unrolled: 1-line block ×3, first 2 shown]
	v_add_f64 v[96:97], v[90:91], v[102:103]
	v_fmac_f64_e32 v[86:87], -0.5, v[96:97]
	v_fma_f64 v[96:97], s[8:9], v[92:93], v[86:87]
	v_add_f64 v[90:91], v[94:95], -v[90:91]
	v_add_f64 v[94:95], v[98:99], -v[102:103]
	v_fmac_f64_e32 v[96:97], s[2:3], v[88:89]
	v_add_f64 v[90:91], v[90:91], v[94:95]
	v_fmac_f64_e32 v[86:87], s[4:5], v[92:93]
	v_add_f64 v[124:125], v[124:125], v[128:129]
	v_fmac_f64_e32 v[96:97], s[6:7], v[90:91]
	v_fmac_f64_e32 v[86:87], s[14:15], v[88:89]
	;; [unrolled: 1-line block ×4, first 2 shown]
	v_mul_f64 v[90:91], v[96:97], s[8:9]
	v_fmac_f64_e32 v[84:85], s[6:7], v[124:125]
	v_fmac_f64_e32 v[90:91], s[6:7], v[138:139]
	v_mul_f64 v[92:93], v[86:87], s[8:9]
	v_mul_f64 v[86:87], v[86:87], s[24:25]
	;; [unrolled: 1-line block ×3, first 2 shown]
	v_add_f64 v[136:137], v[30:31], v[90:91]
	v_fmac_f64_e32 v[92:93], s[24:25], v[84:85]
	v_mul_f64 v[94:95], v[116:117], s[14:15]
	v_mul_f64 v[102:103], v[126:127], s[2:3]
	v_fmac_f64_e32 v[86:87], s[4:5], v[84:85]
	v_mul_f64 v[84:85], v[116:117], s[22:23]
	v_add_f64 v[116:117], v[30:31], -v[90:91]
	s_waitcnt lgkmcnt(13)
	v_add_f64 v[30:31], v[72:73], v[76:77]
	v_add_f64 v[128:129], v[112:113], v[32:33]
	v_fmac_f64_e32 v[88:89], s[26:27], v[126:127]
	v_fmac_f64_e32 v[94:95], s[22:23], v[122:123]
	;; [unrolled: 1-line block ×3, first 2 shown]
	v_mul_f64 v[140:141], v[96:97], s[6:7]
	v_fmac_f64_e32 v[84:85], s[2:3], v[122:123]
	v_add_f64 v[96:97], v[112:113], -v[32:33]
	v_fma_f64 v[32:33], -0.5, v[30:31], v[4:5]
	s_waitcnt lgkmcnt(11)
	v_add_f64 v[30:31], v[70:71], -v[20:21]
	v_add_f64 v[132:133], v[38:39], v[88:89]
	v_add_f64 v[124:125], v[64:65], v[92:93]
	;; [unrolled: 1-line block ×5, first 2 shown]
	v_add_f64 v[100:101], v[38:39], -v[88:89]
	v_add_f64 v[88:89], v[64:65], -v[92:93]
	;; [unrolled: 1-line block ×5, first 2 shown]
	v_fma_f64 v[62:63], s[8:9], v[30:31], v[32:33]
	v_add_f64 v[38:39], v[74:75], -v[78:79]
	v_add_f64 v[40:41], v[68:69], -v[72:73]
	;; [unrolled: 1-line block ×3, first 2 shown]
	v_fmac_f64_e32 v[32:33], s[4:5], v[30:31]
	v_fmac_f64_e32 v[62:63], s[14:15], v[38:39]
	v_add_f64 v[40:41], v[40:41], v[64:65]
	v_fmac_f64_e32 v[32:33], s[2:3], v[38:39]
	v_fmac_f64_e32 v[62:63], s[6:7], v[40:41]
	;; [unrolled: 1-line block ×3, first 2 shown]
	v_add_f64 v[40:41], v[68:69], v[18:19]
	v_add_f64 v[16:17], v[4:5], v[68:69]
	v_fmac_f64_e32 v[4:5], -0.5, v[40:41]
	v_add_f64 v[130:131], v[114:115], v[240:241]
	v_add_f64 v[98:99], v[114:115], -v[240:241]
	v_fma_f64 v[114:115], s[4:5], v[38:39], v[4:5]
	v_fmac_f64_e32 v[4:5], s[8:9], v[38:39]
	v_fmac_f64_e32 v[114:115], s[14:15], v[30:31]
	;; [unrolled: 1-line block ×3, first 2 shown]
	v_add_f64 v[30:31], v[6:7], v[70:71]
	v_add_f64 v[40:41], v[72:73], -v[68:69]
	v_add_f64 v[64:65], v[76:77], -v[18:19]
	v_add_f64 v[30:31], v[30:31], v[74:75]
	v_add_f64 v[16:17], v[16:17], v[72:73]
	;; [unrolled: 1-line block ×5, first 2 shown]
	v_fmac_f64_e32 v[114:115], s[6:7], v[40:41]
	v_fmac_f64_e32 v[4:5], s[6:7], v[40:41]
	v_add_f64 v[40:41], v[30:31], v[20:21]
	v_add_f64 v[30:31], v[74:75], v[78:79]
	;; [unrolled: 1-line block ×3, first 2 shown]
	v_fma_f64 v[38:39], -0.5, v[30:31], v[6:7]
	v_add_f64 v[18:19], v[68:69], -v[18:19]
	v_add_f64 v[126:127], v[66:67], v[86:87]
	v_add_f64 v[90:91], v[66:67], -v[86:87]
	v_fma_f64 v[112:113], s[4:5], v[18:19], v[38:39]
	v_add_f64 v[30:31], v[72:73], -v[76:77]
	v_add_f64 v[64:65], v[70:71], -v[74:75]
	;; [unrolled: 1-line block ×3, first 2 shown]
	v_fmac_f64_e32 v[38:39], s[8:9], v[18:19]
	v_fmac_f64_e32 v[112:113], s[2:3], v[30:31]
	v_add_f64 v[64:65], v[64:65], v[66:67]
	v_fmac_f64_e32 v[38:39], s[14:15], v[30:31]
	v_fmac_f64_e32 v[112:113], s[6:7], v[64:65]
	;; [unrolled: 1-line block ×3, first 2 shown]
	v_add_f64 v[64:65], v[70:71], v[20:21]
	v_fmac_f64_e32 v[6:7], -0.5, v[64:65]
	v_fma_f64 v[240:241], s[8:9], v[30:31], v[6:7]
	v_add_f64 v[64:65], v[74:75], -v[70:71]
	v_add_f64 v[20:21], v[78:79], -v[20:21]
	v_fmac_f64_e32 v[6:7], s[4:5], v[30:31]
	v_fmac_f64_e32 v[240:241], s[2:3], v[18:19]
	v_add_f64 v[20:21], v[64:65], v[20:21]
	v_fmac_f64_e32 v[6:7], s[14:15], v[18:19]
	v_fmac_f64_e32 v[240:241], s[6:7], v[20:21]
	;; [unrolled: 1-line block ×3, first 2 shown]
	v_add_f64 v[20:21], v[244:245], v[26:27]
	v_fma_f64 v[20:21], -0.5, v[20:21], v[0:1]
	s_waitcnt lgkmcnt(10)
	v_add_f64 v[30:31], v[36:37], -v[24:25]
	v_fma_f64 v[66:67], s[8:9], v[30:31], v[20:21]
	v_add_f64 v[64:65], v[246:247], -v[28:29]
	v_add_f64 v[68:69], v[34:35], -v[244:245]
	;; [unrolled: 1-line block ×3, first 2 shown]
	v_fmac_f64_e32 v[20:21], s[4:5], v[30:31]
	v_fmac_f64_e32 v[66:67], s[14:15], v[64:65]
	v_add_f64 v[68:69], v[68:69], v[70:71]
	v_fmac_f64_e32 v[20:21], s[2:3], v[64:65]
	v_add_f64 v[18:19], v[0:1], v[34:35]
	v_fmac_f64_e32 v[66:67], s[6:7], v[68:69]
	v_fmac_f64_e32 v[20:21], s[6:7], v[68:69]
	v_add_f64 v[68:69], v[34:35], v[22:23]
	v_add_f64 v[18:19], v[18:19], v[244:245]
	v_fmac_f64_e32 v[0:1], -0.5, v[68:69]
	v_fmac_f64_e32 v[140:141], s[4:5], v[138:139]
	v_add_f64 v[18:19], v[18:19], v[26:27]
	v_fma_f64 v[70:71], s[4:5], v[64:65], v[0:1]
	v_add_f64 v[68:69], v[244:245], -v[34:35]
	v_add_f64 v[72:73], v[26:27], -v[22:23]
	v_fmac_f64_e32 v[0:1], s[8:9], v[64:65]
	v_add_f64 v[64:65], v[246:247], v[28:29]
	v_add_f64 v[138:139], v[118:119], v[140:141]
	v_add_f64 v[118:119], v[118:119], -v[140:141]
	v_add_f64 v[18:19], v[18:19], v[22:23]
	v_fmac_f64_e32 v[70:71], s[14:15], v[30:31]
	v_add_f64 v[68:69], v[68:69], v[72:73]
	v_fmac_f64_e32 v[0:1], s[2:3], v[30:31]
	v_fma_f64 v[140:141], -0.5, v[64:65], v[2:3]
	v_add_f64 v[22:23], v[34:35], -v[22:23]
	v_fmac_f64_e32 v[70:71], s[6:7], v[68:69]
	v_fmac_f64_e32 v[0:1], s[6:7], v[68:69]
	v_fma_f64 v[34:35], s[4:5], v[22:23], v[140:141]
	v_add_f64 v[26:27], v[244:245], -v[26:27]
	v_add_f64 v[64:65], v[36:37], -v[246:247]
	;; [unrolled: 1-line block ×3, first 2 shown]
	v_fmac_f64_e32 v[140:141], s[8:9], v[22:23]
	v_add_f64 v[30:31], v[2:3], v[36:37]
	v_fmac_f64_e32 v[34:35], s[2:3], v[26:27]
	v_add_f64 v[64:65], v[64:65], v[68:69]
	;; [unrolled: 2-line block ×3, first 2 shown]
	v_fmac_f64_e32 v[34:35], s[6:7], v[64:65]
	v_fmac_f64_e32 v[140:141], s[6:7], v[64:65]
	v_add_f64 v[64:65], v[36:37], v[24:25]
	v_add_f64 v[30:31], v[30:31], v[28:29]
	v_fmac_f64_e32 v[2:3], -0.5, v[64:65]
	v_add_f64 v[30:31], v[30:31], v[24:25]
	v_fma_f64 v[86:87], s[8:9], v[26:27], v[2:3]
	v_add_f64 v[36:37], v[246:247], -v[36:37]
	v_add_f64 v[24:25], v[28:29], -v[24:25]
	v_fmac_f64_e32 v[2:3], s[4:5], v[26:27]
	v_add_f64 v[24:25], v[36:37], v[24:25]
	v_fmac_f64_e32 v[2:3], s[14:15], v[22:23]
	v_fmac_f64_e32 v[2:3], s[6:7], v[24:25]
	;; [unrolled: 1-line block ×3, first 2 shown]
	v_mul_f64 v[36:37], v[2:3], s[8:9]
	v_mul_f64 v[234:235], v[2:3], s[24:25]
	v_fmac_f64_e32 v[86:87], s[6:7], v[24:25]
	v_fmac_f64_e32 v[36:37], s[24:25], v[0:1]
	v_mul_f64 v[144:145], v[66:67], s[2:3]
	v_fmac_f64_e32 v[234:235], s[4:5], v[0:1]
	v_mul_f64 v[0:1], v[140:141], s[22:23]
	v_mul_f64 v[22:23], v[34:35], s[14:15]
	v_mul_f64 v[26:27], v[86:87], s[8:9]
	v_mul_f64 v[142:143], v[140:141], s[14:15]
	v_fmac_f64_e32 v[144:145], s[26:27], v[34:35]
	v_mul_f64 v[34:35], v[86:87], s[6:7]
	v_fmac_f64_e32 v[0:1], s[2:3], v[20:21]
	v_add_f64 v[72:73], v[16:17], v[18:19]
	v_fmac_f64_e32 v[26:27], s[6:7], v[70:71]
	v_fmac_f64_e32 v[142:143], s[22:23], v[20:21]
	;; [unrolled: 1-line block ×3, first 2 shown]
	v_add_f64 v[70:71], v[38:39], v[0:1]
	v_add_f64 v[20:21], v[16:17], -v[18:19]
	v_add_f64 v[18:19], v[38:39], -v[0:1]
	s_waitcnt lgkmcnt(7)
	v_add_f64 v[0:1], v[12:13], v[54:55]
	s_waitcnt lgkmcnt(5)
	v_add_f64 v[0:1], v[0:1], v[50:51]
	;; [unrolled: 2-line block ×3, first 2 shown]
	v_fmac_f64_e32 v[22:23], s[26:27], v[66:67]
	v_add_f64 v[84:85], v[114:115], v[26:27]
	v_add_f64 v[28:29], v[114:115], -v[26:27]
	s_waitcnt lgkmcnt(1)
	v_add_f64 v[114:115], v[0:1], v[42:43]
	v_add_f64 v[0:1], v[50:51], v[46:47]
	;; [unrolled: 1-line block ×3, first 2 shown]
	v_add_f64 v[24:25], v[62:63], -v[22:23]
	v_fma_f64 v[62:63], -0.5, v[0:1], v[12:13]
	v_add_f64 v[0:1], v[56:57], -v[44:45]
	v_add_f64 v[64:65], v[4:5], v[36:37]
	v_add_f64 v[68:69], v[32:33], v[142:143]
	v_add_f64 v[74:75], v[40:41], v[30:31]
	v_add_f64 v[86:87], v[240:241], v[34:35]
	v_add_f64 v[66:67], v[6:7], v[234:235]
	v_add_f64 v[2:3], v[4:5], -v[36:37]
	v_add_f64 v[16:17], v[32:33], -v[142:143]
	;; [unrolled: 1-line block ×5, first 2 shown]
	v_fma_f64 v[6:7], s[8:9], v[0:1], v[62:63]
	v_add_f64 v[32:33], v[52:53], -v[48:49]
	v_add_f64 v[34:35], v[54:55], -v[50:51]
	;; [unrolled: 1-line block ×3, first 2 shown]
	v_fmac_f64_e32 v[62:63], s[4:5], v[0:1]
	v_fmac_f64_e32 v[6:7], s[14:15], v[32:33]
	v_add_f64 v[34:35], v[34:35], v[36:37]
	v_fmac_f64_e32 v[62:63], s[2:3], v[32:33]
	v_fmac_f64_e32 v[6:7], s[6:7], v[34:35]
	;; [unrolled: 1-line block ×3, first 2 shown]
	v_add_f64 v[34:35], v[54:55], v[42:43]
	v_fmac_f64_e32 v[12:13], -0.5, v[34:35]
	v_fma_f64 v[244:245], s[4:5], v[32:33], v[12:13]
	v_fmac_f64_e32 v[12:13], s[8:9], v[32:33]
	v_fmac_f64_e32 v[244:245], s[14:15], v[0:1]
	;; [unrolled: 1-line block ×3, first 2 shown]
	v_add_f64 v[0:1], v[14:15], v[56:57]
	v_add_f64 v[0:1], v[0:1], v[52:53]
	;; [unrolled: 1-line block ×3, first 2 shown]
	v_add_f64 v[34:35], v[50:51], -v[54:55]
	v_add_f64 v[36:37], v[46:47], -v[42:43]
	v_add_f64 v[240:241], v[0:1], v[44:45]
	v_add_f64 v[0:1], v[52:53], v[48:49]
	;; [unrolled: 1-line block ×3, first 2 shown]
	v_add_f64 v[26:27], v[112:113], -v[144:145]
	v_add_f64 v[34:35], v[34:35], v[36:37]
	v_fma_f64 v[112:113], -0.5, v[0:1], v[14:15]
	v_add_f64 v[0:1], v[54:55], -v[42:43]
	v_fmac_f64_e32 v[244:245], s[6:7], v[34:35]
	v_fmac_f64_e32 v[12:13], s[6:7], v[34:35]
	v_fma_f64 v[54:55], s[4:5], v[0:1], v[112:113]
	v_add_f64 v[32:33], v[50:51], -v[46:47]
	v_add_f64 v[34:35], v[56:57], -v[52:53]
	;; [unrolled: 1-line block ×3, first 2 shown]
	v_fmac_f64_e32 v[112:113], s[8:9], v[0:1]
	v_fmac_f64_e32 v[54:55], s[2:3], v[32:33]
	v_add_f64 v[34:35], v[34:35], v[36:37]
	v_fmac_f64_e32 v[112:113], s[14:15], v[32:33]
	v_fmac_f64_e32 v[54:55], s[6:7], v[34:35]
	v_fmac_f64_e32 v[112:113], s[6:7], v[34:35]
	v_add_f64 v[34:35], v[56:57], v[44:45]
	v_fmac_f64_e32 v[14:15], -0.5, v[34:35]
	v_fma_f64 v[246:247], s[8:9], v[32:33], v[14:15]
	v_fmac_f64_e32 v[14:15], s[4:5], v[32:33]
	v_fmac_f64_e32 v[246:247], s[2:3], v[0:1]
	;; [unrolled: 1-line block ×3, first 2 shown]
	v_add_f64 v[0:1], v[8:9], v[108:109]
	v_add_f64 v[0:1], v[0:1], v[104:105]
	;; [unrolled: 1-line block ×3, first 2 shown]
	v_add_f64 v[34:35], v[52:53], -v[56:57]
	v_add_f64 v[36:37], v[48:49], -v[44:45]
	s_waitcnt lgkmcnt(0)
	v_add_f64 v[52:53], v[0:1], v[58:59]
	v_add_f64 v[0:1], v[104:105], v[80:81]
	;; [unrolled: 1-line block ×3, first 2 shown]
	v_fma_f64 v[46:47], -0.5, v[0:1], v[8:9]
	v_add_f64 v[0:1], v[110:111], -v[60:61]
	v_fmac_f64_e32 v[246:247], s[6:7], v[34:35]
	v_fmac_f64_e32 v[14:15], s[6:7], v[34:35]
	v_fma_f64 v[34:35], s[8:9], v[0:1], v[46:47]
	v_add_f64 v[32:33], v[106:107], -v[82:83]
	v_add_f64 v[36:37], v[108:109], -v[104:105]
	;; [unrolled: 1-line block ×3, first 2 shown]
	v_fmac_f64_e32 v[46:47], s[4:5], v[0:1]
	v_fmac_f64_e32 v[34:35], s[14:15], v[32:33]
	v_add_f64 v[36:37], v[36:37], v[38:39]
	v_fmac_f64_e32 v[46:47], s[2:3], v[32:33]
	v_fmac_f64_e32 v[34:35], s[6:7], v[36:37]
	;; [unrolled: 1-line block ×3, first 2 shown]
	v_add_f64 v[36:37], v[108:109], v[58:59]
	v_fmac_f64_e32 v[8:9], -0.5, v[36:37]
	v_fma_f64 v[50:51], s[4:5], v[32:33], v[8:9]
	v_add_f64 v[36:37], v[104:105], -v[108:109]
	v_add_f64 v[38:39], v[80:81], -v[58:59]
	v_fmac_f64_e32 v[8:9], s[8:9], v[32:33]
	v_add_f64 v[32:33], v[106:107], v[82:83]
	v_fmac_f64_e32 v[50:51], s[14:15], v[0:1]
	v_add_f64 v[36:37], v[36:37], v[38:39]
	v_fmac_f64_e32 v[8:9], s[2:3], v[0:1]
	v_fma_f64 v[56:57], -0.5, v[32:33], v[10:11]
	v_add_f64 v[32:33], v[108:109], -v[58:59]
	v_fmac_f64_e32 v[50:51], s[6:7], v[36:37]
	v_fmac_f64_e32 v[8:9], s[6:7], v[36:37]
	v_fma_f64 v[38:39], s[4:5], v[32:33], v[56:57]
	v_add_f64 v[36:37], v[104:105], -v[80:81]
	v_add_f64 v[40:41], v[110:111], -v[106:107]
	;; [unrolled: 1-line block ×3, first 2 shown]
	v_fmac_f64_e32 v[56:57], s[8:9], v[32:33]
	v_fmac_f64_e32 v[38:39], s[2:3], v[36:37]
	v_add_f64 v[40:41], v[40:41], v[42:43]
	v_fmac_f64_e32 v[56:57], s[14:15], v[36:37]
	v_fmac_f64_e32 v[38:39], s[6:7], v[40:41]
	;; [unrolled: 1-line block ×3, first 2 shown]
	v_add_f64 v[40:41], v[110:111], v[60:61]
	v_add_f64 v[0:1], v[10:11], v[110:111]
	v_fmac_f64_e32 v[10:11], -0.5, v[40:41]
	v_add_f64 v[0:1], v[0:1], v[106:107]
	v_fma_f64 v[58:59], s[8:9], v[36:37], v[10:11]
	v_add_f64 v[40:41], v[106:107], -v[110:111]
	v_add_f64 v[42:43], v[82:83], -v[60:61]
	v_add_f64 v[0:1], v[0:1], v[82:83]
	v_fmac_f64_e32 v[58:59], s[2:3], v[32:33]
	v_add_f64 v[40:41], v[40:41], v[42:43]
	v_add_f64 v[0:1], v[0:1], v[60:61]
	v_fmac_f64_e32 v[58:59], s[6:7], v[40:41]
	s_barrier
	ds_write_b128 v243, v[128:131]
	ds_write_b128 v243, v[132:135] offset:16
	ds_write_b128 v243, v[136:139] offset:32
	;; [unrolled: 1-line block ×9, first 2 shown]
	v_mul_f64 v[80:81], v[58:59], s[8:9]
	v_add_f64 v[42:43], v[240:241], v[0:1]
	v_mul_f64 v[108:109], v[58:59], s[6:7]
	v_add_f64 v[58:59], v[240:241], -v[0:1]
	buffer_load_dword v0, off, s[44:47], 0 offset:324 ; 4-byte Folded Reload
	s_waitcnt vmcnt(0)
	ds_write_b128 v0, v[72:75]
	ds_write_b128 v0, v[76:79] offset:16
	ds_write_b128 v0, v[84:87] offset:32
	;; [unrolled: 1-line block ×9, first 2 shown]
	buffer_load_dword v0, off, s[44:47], 0 offset:320 ; 4-byte Folded Reload
	v_fmac_f64_e32 v[10:11], s[4:5], v[36:37]
	v_fmac_f64_e32 v[10:11], s[14:15], v[32:33]
	;; [unrolled: 1-line block ×3, first 2 shown]
	v_mul_f64 v[60:61], v[38:39], s[14:15]
	v_mul_f64 v[82:83], v[10:11], s[8:9]
	v_mul_f64 v[104:105], v[56:57], s[14:15]
	v_mul_f64 v[106:107], v[34:35], s[2:3]
	v_mul_f64 v[110:111], v[10:11], s[24:25]
	v_mul_f64 v[140:141], v[56:57], s[22:23]
	v_fmac_f64_e32 v[60:61], s[26:27], v[34:35]
	v_fmac_f64_e32 v[80:81], s[6:7], v[50:51]
	;; [unrolled: 1-line block ×8, first 2 shown]
	v_add_f64 v[40:41], v[114:115], v[52:53]
	v_add_f64 v[36:37], v[6:7], v[60:61]
	;; [unrolled: 1-line block ×9, first 2 shown]
	v_add_f64 v[56:57], v[114:115], -v[52:53]
	v_add_f64 v[52:53], v[6:7], -v[60:61]
	;; [unrolled: 1-line block ×9, first 2 shown]
	s_waitcnt vmcnt(0)
	ds_write_b128 v0, v[40:43]
	ds_write_b128 v0, v[36:39] offset:16
	ds_write_b128 v0, v[32:35] offset:32
	;; [unrolled: 1-line block ×9, first 2 shown]
	s_waitcnt lgkmcnt(0)
	s_barrier
	ds_read_b128 v[16:19], v242
	ds_read_b128 v[116:119], v242 offset:7680
	ds_read_b128 v[112:115], v242 offset:15360
	;; [unrolled: 1-line block ×29, first 2 shown]
	buffer_load_dword v0, off, s[44:47], 0 offset:596 ; 4-byte Folded Reload
	buffer_load_dword v1, off, s[44:47], 0 offset:600 ; 4-byte Folded Reload
	buffer_load_dword v2, off, s[44:47], 0 offset:604 ; 4-byte Folded Reload
	buffer_load_dword v3, off, s[44:47], 0 offset:608 ; 4-byte Folded Reload
	s_mov_b32 s2, 0x16c16c17
	s_mov_b32 s3, 0x3f36c16c
	s_waitcnt vmcnt(0) lgkmcnt(14)
	v_mul_f64 v[134:135], v[2:3], v[118:119]
	v_fmac_f64_e32 v[134:135], v[0:1], v[116:117]
	v_mul_f64 v[116:117], v[2:3], v[116:117]
	v_fma_f64 v[240:241], v[0:1], v[118:119], -v[116:117]
	buffer_load_dword v0, off, s[44:47], 0 offset:580 ; 4-byte Folded Reload
	buffer_load_dword v1, off, s[44:47], 0 offset:584 ; 4-byte Folded Reload
	buffer_load_dword v2, off, s[44:47], 0 offset:588 ; 4-byte Folded Reload
	buffer_load_dword v3, off, s[44:47], 0 offset:592 ; 4-byte Folded Reload
	s_waitcnt vmcnt(0)
	v_mul_f64 v[140:141], v[2:3], v[114:115]
	v_fmac_f64_e32 v[140:141], v[0:1], v[112:113]
	v_mul_f64 v[112:113], v[2:3], v[112:113]
	v_fma_f64 v[142:143], v[0:1], v[114:115], -v[112:113]
	buffer_load_dword v0, off, s[44:47], 0 offset:564 ; 4-byte Folded Reload
	buffer_load_dword v1, off, s[44:47], 0 offset:568 ; 4-byte Folded Reload
	buffer_load_dword v2, off, s[44:47], 0 offset:572 ; 4-byte Folded Reload
	buffer_load_dword v3, off, s[44:47], 0 offset:576 ; 4-byte Folded Reload
	s_waitcnt vmcnt(0)
	;; [unrolled: 9-line block ×7, first 2 shown]
	v_mul_f64 v[126:127], v[94:95], v[90:91]
	v_fmac_f64_e32 v[126:127], v[92:93], v[88:89]
	v_mul_f64 v[88:89], v[94:95], v[88:89]
	v_fma_f64 v[128:129], v[92:93], v[90:91], -v[88:89]
	buffer_load_dword v88, off, s[44:47], 0 offset:632 ; 4-byte Folded Reload
	buffer_load_dword v89, off, s[44:47], 0 offset:636 ; 4-byte Folded Reload
	;; [unrolled: 1-line block ×4, first 2 shown]
	s_waitcnt lgkmcnt(0)
	s_barrier
	s_waitcnt vmcnt(0)
	v_mul_f64 v[0:1], v[90:91], v[86:87]
	v_fmac_f64_e32 v[0:1], v[88:89], v[84:85]
	v_mul_f64 v[84:85], v[90:91], v[84:85]
	v_fma_f64 v[102:103], v[88:89], v[86:87], -v[84:85]
	v_accvgpr_read_b32 v84, a184
	v_accvgpr_read_b32 v86, a186
	v_accvgpr_read_b32 v87, a187
	v_accvgpr_read_b32 v85, a185
	v_mul_f64 v[132:133], v[86:87], v[82:83]
	v_fmac_f64_e32 v[132:133], v[84:85], v[80:81]
	v_mul_f64 v[80:81], v[86:87], v[80:81]
	v_fma_f64 v[82:83], v[84:85], v[82:83], -v[80:81]
	v_accvgpr_read_b32 v84, a228
	v_accvgpr_read_b32 v86, a230
	v_accvgpr_read_b32 v87, a231
	v_accvgpr_read_b32 v85, a229
	;; [unrolled: 8-line block ×16, first 2 shown]
	v_mul_f64 v[104:105], v[26:27], v[22:23]
	v_fmac_f64_e32 v[104:105], v[24:25], v[20:21]
	v_mul_f64 v[20:21], v[26:27], v[20:21]
	v_fma_f64 v[108:109], v[24:25], v[22:23], -v[20:21]
	v_add_f64 v[20:21], v[16:17], v[140:141]
	v_add_f64 v[32:33], v[20:21], v[236:237]
	v_add_f64 v[20:21], v[140:141], v[236:237]
	v_fmac_f64_e32 v[16:17], -0.5, v[20:21]
	v_add_f64 v[20:21], v[142:143], -v[238:239]
	v_fma_f64 v[34:35], s[20:21], v[20:21], v[16:17]
	v_fmac_f64_e32 v[16:17], s[18:19], v[20:21]
	v_add_f64 v[20:21], v[18:19], v[142:143]
	v_add_f64 v[38:39], v[20:21], v[238:239]
	v_add_f64 v[20:21], v[142:143], v[238:239]
	v_fmac_f64_e32 v[18:19], -0.5, v[20:21]
	v_add_f64 v[20:21], v[140:141], -v[236:237]
	v_fma_f64 v[40:41], s[18:19], v[20:21], v[18:19]
	v_fmac_f64_e32 v[18:19], s[20:21], v[20:21]
	;; [unrolled: 7-line block ×3, first 2 shown]
	v_add_f64 v[20:21], v[240:241], v[234:235]
	v_add_f64 v[42:43], v[20:21], v[246:247]
	;; [unrolled: 1-line block ×3, first 2 shown]
	v_fmac_f64_e32 v[240:241], -0.5, v[20:21]
	v_add_f64 v[20:21], v[144:145], -v[244:245]
	v_fma_f64 v[30:31], s[18:19], v[20:21], v[240:241]
	v_mul_f64 v[44:45], v[30:31], s[20:21]
	v_mul_f64 v[52:53], v[30:31], 0.5
	v_fmac_f64_e32 v[44:45], 0.5, v[22:23]
	v_fmac_f64_e32 v[52:53], s[18:19], v[22:23]
	v_fmac_f64_e32 v[240:241], s[20:21], v[20:21]
	v_add_f64 v[24:25], v[32:33], v[36:37]
	v_add_f64 v[20:21], v[34:35], v[44:45]
	;; [unrolled: 1-line block ×3, first 2 shown]
	v_add_f64 v[36:37], v[32:33], -v[36:37]
	v_add_f64 v[32:33], v[34:35], -v[44:45]
	;; [unrolled: 1-line block ×3, first 2 shown]
	v_add_f64 v[40:41], v[12:13], v[130:131]
	v_mul_f64 v[54:55], v[240:241], -0.5
	v_add_f64 v[52:53], v[40:41], v[0:1]
	v_add_f64 v[40:41], v[130:131], v[0:1]
	v_fmac_f64_e32 v[54:55], s[18:19], v[134:135]
	v_fmac_f64_e32 v[12:13], -0.5, v[40:41]
	v_add_f64 v[40:41], v[2:3], -v[102:103]
	v_add_f64 v[30:31], v[18:19], v[54:55]
	v_add_f64 v[18:19], v[18:19], -v[54:55]
	v_fma_f64 v[54:55], s[20:21], v[40:41], v[12:13]
	v_fmac_f64_e32 v[12:13], s[18:19], v[40:41]
	v_add_f64 v[40:41], v[14:15], v[2:3]
	v_add_f64 v[2:3], v[2:3], v[102:103]
	;; [unrolled: 1-line block ×3, first 2 shown]
	v_fmac_f64_e32 v[14:15], -0.5, v[2:3]
	v_add_f64 v[0:1], v[130:131], -v[0:1]
	v_add_f64 v[40:41], v[126:127], v[132:133]
	v_fma_f64 v[2:3], s[18:19], v[0:1], v[14:15]
	v_fmac_f64_e32 v[14:15], s[20:21], v[0:1]
	v_add_f64 v[0:1], v[122:123], v[126:127]
	v_fmac_f64_e32 v[122:123], -0.5, v[40:41]
	v_add_f64 v[40:41], v[128:129], -v[82:83]
	v_add_f64 v[26:27], v[38:39], v[42:43]
	v_add_f64 v[38:39], v[38:39], -v[42:43]
	v_fma_f64 v[42:43], s[20:21], v[40:41], v[122:123]
	v_fmac_f64_e32 v[122:123], s[18:19], v[40:41]
	v_add_f64 v[40:41], v[124:125], v[128:129]
	v_add_f64 v[62:63], v[40:41], v[82:83]
	;; [unrolled: 1-line block ×3, first 2 shown]
	v_fmac_f64_e32 v[124:125], -0.5, v[40:41]
	v_add_f64 v[40:41], v[126:127], -v[132:133]
	v_fma_f64 v[56:57], s[18:19], v[40:41], v[124:125]
	v_mul_f64 v[82:83], v[56:57], s[20:21]
	v_mul_f64 v[130:131], v[56:57], 0.5
	v_mul_f64 v[46:47], v[240:241], s[20:21]
	v_add_f64 v[0:1], v[0:1], v[132:133]
	v_fmac_f64_e32 v[82:83], 0.5, v[42:43]
	v_fmac_f64_e32 v[130:131], s[18:19], v[42:43]
	v_fmac_f64_e32 v[46:47], -0.5, v[134:135]
	v_fmac_f64_e32 v[124:125], s[20:21], v[40:41]
	v_add_f64 v[44:45], v[52:53], v[0:1]
	v_add_f64 v[40:41], v[54:55], v[82:83]
	;; [unrolled: 1-line block ×3, first 2 shown]
	v_add_f64 v[56:57], v[52:53], -v[0:1]
	v_add_f64 v[52:53], v[54:55], -v[82:83]
	;; [unrolled: 1-line block ×3, first 2 shown]
	v_add_f64 v[2:3], v[78:79], v[70:71]
	v_add_f64 v[28:29], v[16:17], v[46:47]
	v_add_f64 v[16:17], v[16:17], -v[46:47]
	v_add_f64 v[46:47], v[58:59], v[62:63]
	v_add_f64 v[58:59], v[58:59], -v[62:63]
	v_add_f64 v[0:1], v[8:9], v[78:79]
	v_fmac_f64_e32 v[8:9], -0.5, v[2:3]
	v_add_f64 v[2:3], v[74:75], -v[66:67]
	v_add_f64 v[62:63], v[74:75], v[66:67]
	v_fma_f64 v[82:83], s[20:21], v[2:3], v[8:9]
	v_fmac_f64_e32 v[8:9], s[18:19], v[2:3]
	v_add_f64 v[2:3], v[10:11], v[74:75]
	v_fmac_f64_e32 v[10:11], -0.5, v[62:63]
	v_add_f64 v[62:63], v[78:79], -v[70:71]
	v_fma_f64 v[74:75], s[18:19], v[62:63], v[10:11]
	v_fmac_f64_e32 v[10:11], s[20:21], v[62:63]
	v_add_f64 v[62:63], v[96:97], v[72:73]
	v_add_f64 v[78:79], v[62:63], v[64:65]
	;; [unrolled: 1-line block ×3, first 2 shown]
	v_mul_f64 v[102:103], v[124:125], s[20:21]
	v_fmac_f64_e32 v[96:97], -0.5, v[62:63]
	v_add_f64 v[62:63], v[68:69], -v[60:61]
	v_fmac_f64_e32 v[102:103], -0.5, v[122:123]
	v_add_f64 v[0:1], v[0:1], v[70:71]
	v_fma_f64 v[70:71], s[20:21], v[62:63], v[96:97]
	v_fmac_f64_e32 v[96:97], s[18:19], v[62:63]
	v_add_f64 v[62:63], v[76:77], v[68:69]
	v_add_f64 v[126:127], v[12:13], v[102:103]
	v_add_f64 v[12:13], v[12:13], -v[102:103]
	v_add_f64 v[102:103], v[62:63], v[60:61]
	v_add_f64 v[60:61], v[68:69], v[60:61]
	v_fmac_f64_e32 v[76:77], -0.5, v[60:61]
	v_add_f64 v[60:61], v[72:73], -v[64:65]
	v_fma_f64 v[62:63], s[18:19], v[60:61], v[76:77]
	v_mul_f64 v[124:125], v[124:125], -0.5
	v_add_f64 v[2:3], v[2:3], v[66:67]
	v_fmac_f64_e32 v[76:77], s[20:21], v[60:61]
	v_mul_f64 v[72:73], v[62:63], s[20:21]
	v_fmac_f64_e32 v[124:125], s[18:19], v[122:123]
	v_add_f64 v[64:65], v[0:1], v[78:79]
	v_fmac_f64_e32 v[72:73], 0.5, v[70:71]
	v_mul_f64 v[122:123], v[76:77], s[20:21]
	v_add_f64 v[66:67], v[2:3], v[102:103]
	v_mul_f64 v[130:131], v[76:77], -0.5
	v_add_f64 v[76:77], v[0:1], -v[78:79]
	v_add_f64 v[78:79], v[2:3], -v[102:103]
	v_add_f64 v[2:3], v[84:85], v[98:99]
	v_add_f64 v[60:61], v[82:83], v[72:73]
	v_add_f64 v[72:73], v[82:83], -v[72:73]
	v_add_f64 v[0:1], v[4:5], v[84:85]
	v_fmac_f64_e32 v[4:5], -0.5, v[2:3]
	v_add_f64 v[2:3], v[88:89], -v[120:121]
	v_add_f64 v[82:83], v[88:89], v[120:121]
	v_fma_f64 v[102:103], s[20:21], v[2:3], v[4:5]
	v_fmac_f64_e32 v[4:5], s[18:19], v[2:3]
	v_add_f64 v[2:3], v[6:7], v[88:89]
	v_fmac_f64_e32 v[6:7], -0.5, v[82:83]
	v_add_f64 v[82:83], v[84:85], -v[98:99]
	v_add_f64 v[2:3], v[2:3], v[120:121]
	v_fma_f64 v[120:121], s[18:19], v[82:83], v[6:7]
	v_fmac_f64_e32 v[6:7], s[20:21], v[82:83]
	v_add_f64 v[82:83], v[90:91], v[80:81]
	v_fmac_f64_e32 v[122:123], -0.5, v[96:97]
	v_fmac_f64_e32 v[130:131], s[18:19], v[96:97]
	v_add_f64 v[96:97], v[82:83], v[86:87]
	v_add_f64 v[82:83], v[80:81], v[86:87]
	v_fmac_f64_e32 v[90:91], -0.5, v[82:83]
	v_add_f64 v[82:83], v[48:49], -v[94:95]
	v_add_f64 v[0:1], v[0:1], v[98:99]
	v_fma_f64 v[98:99], s[20:21], v[82:83], v[90:91]
	v_fmac_f64_e32 v[90:91], s[18:19], v[82:83]
	v_add_f64 v[82:83], v[92:93], v[48:49]
	v_add_f64 v[48:49], v[48:49], v[94:95]
	;; [unrolled: 1-line block ×3, first 2 shown]
	v_add_f64 v[14:15], v[14:15], -v[124:125]
	v_mul_f64 v[124:125], v[62:63], 0.5
	v_fmac_f64_e32 v[92:93], -0.5, v[48:49]
	v_add_f64 v[48:49], v[80:81], -v[86:87]
	v_add_f64 v[68:69], v[8:9], v[122:123]
	v_fmac_f64_e32 v[124:125], s[18:19], v[70:71]
	v_add_f64 v[8:9], v[8:9], -v[122:123]
	v_add_f64 v[122:123], v[82:83], v[94:95]
	v_fma_f64 v[82:83], s[18:19], v[48:49], v[92:93]
	v_add_f64 v[62:63], v[74:75], v[124:125]
	v_add_f64 v[74:75], v[74:75], -v[124:125]
	v_fmac_f64_e32 v[92:93], s[20:21], v[48:49]
	v_mul_f64 v[48:49], v[82:83], s[20:21]
	v_mul_f64 v[124:125], v[82:83], 0.5
	v_fmac_f64_e32 v[48:49], 0.5, v[98:99]
	v_add_f64 v[86:87], v[2:3], v[122:123]
	v_fmac_f64_e32 v[124:125], s[18:19], v[98:99]
	v_add_f64 v[98:99], v[2:3], -v[122:123]
	v_add_f64 v[2:3], v[106:107], v[116:117]
	v_add_f64 v[70:71], v[10:11], v[130:131]
	v_add_f64 v[10:11], v[10:11], -v[130:131]
	v_add_f64 v[84:85], v[0:1], v[96:97]
	v_add_f64 v[80:81], v[102:103], v[48:49]
	v_mul_f64 v[94:95], v[92:93], s[20:21]
	v_mul_f64 v[130:131], v[92:93], -0.5
	v_add_f64 v[96:97], v[0:1], -v[96:97]
	v_add_f64 v[92:93], v[102:103], -v[48:49]
	v_add_f64 v[0:1], v[136:137], v[106:107]
	v_fmac_f64_e32 v[136:137], -0.5, v[2:3]
	v_add_f64 v[2:3], v[114:115], -v[118:119]
	v_add_f64 v[102:103], v[114:115], v[118:119]
	v_fma_f64 v[48:49], s[20:21], v[2:3], v[136:137]
	v_fmac_f64_e32 v[136:137], s[18:19], v[2:3]
	v_add_f64 v[2:3], v[138:139], v[114:115]
	v_fmac_f64_e32 v[138:139], -0.5, v[102:103]
	v_add_f64 v[102:103], v[106:107], -v[116:117]
	v_fma_f64 v[114:115], s[18:19], v[102:103], v[138:139]
	v_fmac_f64_e32 v[138:139], s[20:21], v[102:103]
	v_add_f64 v[102:103], v[110:111], v[100:101]
	v_add_f64 v[0:1], v[0:1], v[116:117]
	;; [unrolled: 1-line block ×4, first 2 shown]
	v_fmac_f64_e32 v[110:111], -0.5, v[102:103]
	v_add_f64 v[102:103], v[50:51], -v[108:109]
	v_add_f64 v[2:3], v[2:3], v[118:119]
	v_fma_f64 v[118:119], s[20:21], v[102:103], v[110:111]
	v_fmac_f64_e32 v[110:111], s[18:19], v[102:103]
	v_add_f64 v[102:103], v[112:113], v[50:51]
	v_add_f64 v[50:51], v[50:51], v[108:109]
	v_fmac_f64_e32 v[94:95], -0.5, v[90:91]
	v_fmac_f64_e32 v[112:113], -0.5, v[50:51]
	v_add_f64 v[50:51], v[100:101], -v[104:105]
	v_add_f64 v[88:89], v[4:5], v[94:95]
	v_add_f64 v[82:83], v[120:121], v[124:125]
	v_add_f64 v[4:5], v[4:5], -v[94:95]
	v_add_f64 v[94:95], v[120:121], -v[124:125]
	v_add_f64 v[120:121], v[102:103], v[108:109]
	v_fma_f64 v[102:103], s[18:19], v[50:51], v[112:113]
	v_fmac_f64_e32 v[112:113], s[20:21], v[50:51]
	v_mul_f64 v[50:51], v[102:103], s[20:21]
	v_fmac_f64_e32 v[130:131], s[18:19], v[90:91]
	v_fmac_f64_e32 v[50:51], 0.5, v[118:119]
	v_add_f64 v[90:91], v[6:7], v[130:131]
	v_add_f64 v[6:7], v[6:7], -v[130:131]
	v_add_f64 v[100:101], v[48:49], v[50:51]
	v_mul_f64 v[122:123], v[112:113], s[20:21]
	v_mul_f64 v[130:131], v[112:113], -0.5
	v_add_f64 v[112:113], v[48:49], -v[50:51]
	buffer_load_dword v48, off, s[44:47], 0 offset:456 ; 4-byte Folded Reload
	s_waitcnt vmcnt(0)
	ds_write_b128 v48, v[24:27]
	ds_write_b128 v48, v[20:23] offset:160
	ds_write_b128 v48, v[28:31] offset:320
	ds_write_b128 v48, v[36:39] offset:480
	ds_write_b128 v48, v[32:35] offset:640
	ds_write_b128 v48, v[16:19] offset:800
	buffer_load_dword v16, off, s[44:47], 0 offset:452 ; 4-byte Folded Reload
	s_waitcnt vmcnt(0)
	ds_write_b128 v16, v[44:47]
	ds_write_b128 v16, v[40:43] offset:160
	ds_write_b128 v16, v[126:129] offset:320
	ds_write_b128 v16, v[56:59] offset:480
	ds_write_b128 v16, v[52:55] offset:640
	ds_write_b128 v16, v[12:15] offset:800
	;; [unrolled: 8-line block ×4, first 2 shown]
	buffer_load_dword v4, off, s[44:47], 0 offset:360 ; 4-byte Folded Reload
	v_fmac_f64_e32 v[122:123], -0.5, v[110:111]
	v_mul_f64 v[124:125], v[102:103], 0.5
	v_fmac_f64_e32 v[130:131], s[18:19], v[110:111]
	v_add_f64 v[104:105], v[0:1], v[116:117]
	v_add_f64 v[106:107], v[2:3], v[120:121]
	v_fmac_f64_e32 v[124:125], s[18:19], v[118:119]
	v_add_f64 v[116:117], v[0:1], -v[116:117]
	v_add_f64 v[0:1], v[136:137], -v[122:123]
	;; [unrolled: 1-line block ×4, first 2 shown]
	v_add_f64 v[108:109], v[136:137], v[122:123]
	v_add_f64 v[102:103], v[114:115], v[124:125]
	;; [unrolled: 1-line block ×3, first 2 shown]
	v_add_f64 v[114:115], v[114:115], -v[124:125]
	s_waitcnt vmcnt(0)
	ds_write_b128 v4, v[104:107]
	ds_write_b128 v4, v[100:103] offset:160
	ds_write_b128 v4, v[108:111] offset:320
	;; [unrolled: 1-line block ×5, first 2 shown]
	v_accvgpr_read_b32 v0, a236
	v_accvgpr_read_b32 v2, a238
	;; [unrolled: 1-line block ×3, first 2 shown]
	s_waitcnt lgkmcnt(0)
	s_barrier
	ds_read_b128 v[16:19], v242
	ds_read_b128 v[116:119], v242 offset:7680
	ds_read_b128 v[112:115], v242 offset:15360
	;; [unrolled: 1-line block ×29, first 2 shown]
	v_accvgpr_read_b32 v1, a237
	s_waitcnt lgkmcnt(14)
	v_mul_f64 v[134:135], v[2:3], v[118:119]
	v_fmac_f64_e32 v[134:135], v[0:1], v[116:117]
	v_mul_f64 v[116:117], v[2:3], v[116:117]
	v_fma_f64 v[240:241], v[0:1], v[118:119], -v[116:117]
	v_accvgpr_read_b32 v0, a138
	v_accvgpr_read_b32 v2, a140
	v_accvgpr_read_b32 v3, a141
	v_accvgpr_read_b32 v1, a139
	v_mul_f64 v[140:141], v[2:3], v[114:115]
	v_fmac_f64_e32 v[140:141], v[0:1], v[112:113]
	v_mul_f64 v[112:113], v[2:3], v[112:113]
	v_fma_f64 v[142:143], v[0:1], v[114:115], -v[112:113]
	v_accvgpr_read_b32 v0, a122
	v_accvgpr_read_b32 v2, a124
	v_accvgpr_read_b32 v3, a125
	v_accvgpr_read_b32 v1, a123
	;; [unrolled: 8-line block ×13, first 2 shown]
	s_waitcnt lgkmcnt(13)
	v_mul_f64 v[70:71], v[86:87], v[66:67]
	v_fmac_f64_e32 v[70:71], v[84:85], v[64:65]
	v_mul_f64 v[64:65], v[86:87], v[64:65]
	v_fma_f64 v[66:67], v[84:85], v[66:67], -v[64:65]
	v_accvgpr_read_b32 v84, a162
	v_accvgpr_read_b32 v86, a164
	v_accvgpr_read_b32 v87, a165
	v_accvgpr_read_b32 v85, a163
	s_waitcnt lgkmcnt(12)
	v_mul_f64 v[64:65], v[86:87], v[62:63]
	v_fmac_f64_e32 v[64:65], v[84:85], v[60:61]
	v_mul_f64 v[60:61], v[86:87], v[60:61]
	v_fma_f64 v[60:61], v[84:85], v[62:63], -v[60:61]
	v_accvgpr_read_b32 v87, a79
	v_accvgpr_read_b32 v86, a78
	v_accvgpr_read_b32 v85, a77
	v_accvgpr_read_b32 v84, a76
	;; [unrolled: 9-line block ×11, first 2 shown]
	s_waitcnt lgkmcnt(0)
	v_mul_f64 v[104:105], v[26:27], v[22:23]
	v_fmac_f64_e32 v[104:105], v[24:25], v[20:21]
	v_mul_f64 v[20:21], v[26:27], v[20:21]
	v_fma_f64 v[108:109], v[24:25], v[22:23], -v[20:21]
	v_add_f64 v[20:21], v[16:17], v[140:141]
	v_add_f64 v[32:33], v[20:21], v[236:237]
	v_add_f64 v[20:21], v[140:141], v[236:237]
	v_fmac_f64_e32 v[16:17], -0.5, v[20:21]
	v_add_f64 v[20:21], v[142:143], -v[238:239]
	v_fma_f64 v[34:35], s[20:21], v[20:21], v[16:17]
	v_fmac_f64_e32 v[16:17], s[18:19], v[20:21]
	v_add_f64 v[20:21], v[18:19], v[142:143]
	v_add_f64 v[38:39], v[20:21], v[238:239]
	v_add_f64 v[20:21], v[142:143], v[238:239]
	v_fmac_f64_e32 v[18:19], -0.5, v[20:21]
	v_add_f64 v[20:21], v[140:141], -v[236:237]
	v_fma_f64 v[40:41], s[18:19], v[20:21], v[18:19]
	v_fmac_f64_e32 v[18:19], s[20:21], v[20:21]
	;; [unrolled: 7-line block ×3, first 2 shown]
	v_add_f64 v[20:21], v[240:241], v[234:235]
	v_add_f64 v[42:43], v[20:21], v[246:247]
	;; [unrolled: 1-line block ×3, first 2 shown]
	v_fmac_f64_e32 v[240:241], -0.5, v[20:21]
	v_add_f64 v[20:21], v[144:145], -v[244:245]
	v_fma_f64 v[30:31], s[18:19], v[20:21], v[240:241]
	v_mul_f64 v[44:45], v[30:31], s[20:21]
	v_mul_f64 v[52:53], v[30:31], 0.5
	v_fmac_f64_e32 v[44:45], 0.5, v[22:23]
	v_fmac_f64_e32 v[52:53], s[18:19], v[22:23]
	v_fmac_f64_e32 v[240:241], s[20:21], v[20:21]
	v_add_f64 v[24:25], v[32:33], v[36:37]
	v_add_f64 v[20:21], v[34:35], v[44:45]
	;; [unrolled: 1-line block ×3, first 2 shown]
	v_add_f64 v[36:37], v[32:33], -v[36:37]
	v_add_f64 v[32:33], v[34:35], -v[44:45]
	;; [unrolled: 1-line block ×3, first 2 shown]
	v_add_f64 v[40:41], v[12:13], v[130:131]
	v_mul_f64 v[54:55], v[240:241], -0.5
	v_add_f64 v[52:53], v[40:41], v[0:1]
	v_add_f64 v[40:41], v[130:131], v[0:1]
	v_fmac_f64_e32 v[54:55], s[18:19], v[134:135]
	v_fmac_f64_e32 v[12:13], -0.5, v[40:41]
	v_add_f64 v[40:41], v[2:3], -v[102:103]
	v_add_f64 v[30:31], v[18:19], v[54:55]
	v_add_f64 v[18:19], v[18:19], -v[54:55]
	v_fma_f64 v[54:55], s[20:21], v[40:41], v[12:13]
	v_fmac_f64_e32 v[12:13], s[18:19], v[40:41]
	v_add_f64 v[40:41], v[14:15], v[2:3]
	v_add_f64 v[2:3], v[2:3], v[102:103]
	;; [unrolled: 1-line block ×3, first 2 shown]
	v_fmac_f64_e32 v[14:15], -0.5, v[2:3]
	v_add_f64 v[0:1], v[130:131], -v[0:1]
	v_add_f64 v[40:41], v[126:127], v[132:133]
	v_fma_f64 v[2:3], s[18:19], v[0:1], v[14:15]
	v_fmac_f64_e32 v[14:15], s[20:21], v[0:1]
	v_add_f64 v[0:1], v[122:123], v[126:127]
	v_fmac_f64_e32 v[122:123], -0.5, v[40:41]
	v_add_f64 v[40:41], v[128:129], -v[82:83]
	v_add_f64 v[26:27], v[38:39], v[42:43]
	v_add_f64 v[38:39], v[38:39], -v[42:43]
	v_fma_f64 v[42:43], s[20:21], v[40:41], v[122:123]
	v_fmac_f64_e32 v[122:123], s[18:19], v[40:41]
	v_add_f64 v[40:41], v[124:125], v[128:129]
	v_add_f64 v[62:63], v[40:41], v[82:83]
	v_add_f64 v[40:41], v[128:129], v[82:83]
	v_fmac_f64_e32 v[124:125], -0.5, v[40:41]
	v_add_f64 v[40:41], v[126:127], -v[132:133]
	v_fma_f64 v[56:57], s[18:19], v[40:41], v[124:125]
	v_mul_f64 v[82:83], v[56:57], s[20:21]
	v_mul_f64 v[130:131], v[56:57], 0.5
	v_mul_f64 v[46:47], v[240:241], s[20:21]
	v_add_f64 v[0:1], v[0:1], v[132:133]
	v_fmac_f64_e32 v[82:83], 0.5, v[42:43]
	v_fmac_f64_e32 v[130:131], s[18:19], v[42:43]
	v_fmac_f64_e32 v[46:47], -0.5, v[134:135]
	v_fmac_f64_e32 v[124:125], s[20:21], v[40:41]
	v_add_f64 v[44:45], v[52:53], v[0:1]
	v_add_f64 v[40:41], v[54:55], v[82:83]
	;; [unrolled: 1-line block ×3, first 2 shown]
	v_add_f64 v[56:57], v[52:53], -v[0:1]
	v_add_f64 v[52:53], v[54:55], -v[82:83]
	v_add_f64 v[54:55], v[2:3], -v[130:131]
	v_add_f64 v[2:3], v[78:79], v[70:71]
	v_add_f64 v[28:29], v[16:17], v[46:47]
	v_add_f64 v[16:17], v[16:17], -v[46:47]
	v_add_f64 v[46:47], v[58:59], v[62:63]
	v_add_f64 v[58:59], v[58:59], -v[62:63]
	v_add_f64 v[0:1], v[8:9], v[78:79]
	v_fmac_f64_e32 v[8:9], -0.5, v[2:3]
	v_add_f64 v[2:3], v[74:75], -v[66:67]
	v_add_f64 v[62:63], v[74:75], v[66:67]
	v_fma_f64 v[82:83], s[20:21], v[2:3], v[8:9]
	v_fmac_f64_e32 v[8:9], s[18:19], v[2:3]
	v_add_f64 v[2:3], v[10:11], v[74:75]
	v_fmac_f64_e32 v[10:11], -0.5, v[62:63]
	v_add_f64 v[62:63], v[78:79], -v[70:71]
	v_fma_f64 v[74:75], s[18:19], v[62:63], v[10:11]
	v_fmac_f64_e32 v[10:11], s[20:21], v[62:63]
	v_add_f64 v[62:63], v[96:97], v[72:73]
	v_add_f64 v[78:79], v[62:63], v[64:65]
	;; [unrolled: 1-line block ×3, first 2 shown]
	v_mul_f64 v[102:103], v[124:125], s[20:21]
	v_fmac_f64_e32 v[96:97], -0.5, v[62:63]
	v_add_f64 v[62:63], v[68:69], -v[60:61]
	v_fmac_f64_e32 v[102:103], -0.5, v[122:123]
	v_add_f64 v[0:1], v[0:1], v[70:71]
	v_fma_f64 v[70:71], s[20:21], v[62:63], v[96:97]
	v_fmac_f64_e32 v[96:97], s[18:19], v[62:63]
	v_add_f64 v[62:63], v[76:77], v[68:69]
	v_add_f64 v[126:127], v[12:13], v[102:103]
	v_add_f64 v[12:13], v[12:13], -v[102:103]
	v_add_f64 v[102:103], v[62:63], v[60:61]
	v_add_f64 v[60:61], v[68:69], v[60:61]
	v_fmac_f64_e32 v[76:77], -0.5, v[60:61]
	v_add_f64 v[60:61], v[72:73], -v[64:65]
	v_fma_f64 v[62:63], s[18:19], v[60:61], v[76:77]
	v_mul_f64 v[124:125], v[124:125], -0.5
	v_add_f64 v[2:3], v[2:3], v[66:67]
	v_fmac_f64_e32 v[76:77], s[20:21], v[60:61]
	v_mul_f64 v[72:73], v[62:63], s[20:21]
	v_fmac_f64_e32 v[124:125], s[18:19], v[122:123]
	v_add_f64 v[64:65], v[0:1], v[78:79]
	v_fmac_f64_e32 v[72:73], 0.5, v[70:71]
	v_mul_f64 v[122:123], v[76:77], s[20:21]
	v_add_f64 v[66:67], v[2:3], v[102:103]
	v_mul_f64 v[130:131], v[76:77], -0.5
	v_add_f64 v[76:77], v[0:1], -v[78:79]
	v_add_f64 v[78:79], v[2:3], -v[102:103]
	v_add_f64 v[2:3], v[84:85], v[98:99]
	v_add_f64 v[60:61], v[82:83], v[72:73]
	v_add_f64 v[72:73], v[82:83], -v[72:73]
	v_add_f64 v[0:1], v[4:5], v[84:85]
	v_fmac_f64_e32 v[4:5], -0.5, v[2:3]
	v_add_f64 v[2:3], v[88:89], -v[120:121]
	v_add_f64 v[82:83], v[88:89], v[120:121]
	v_fma_f64 v[102:103], s[20:21], v[2:3], v[4:5]
	v_fmac_f64_e32 v[4:5], s[18:19], v[2:3]
	v_add_f64 v[2:3], v[6:7], v[88:89]
	v_fmac_f64_e32 v[6:7], -0.5, v[82:83]
	v_add_f64 v[82:83], v[84:85], -v[98:99]
	v_add_f64 v[2:3], v[2:3], v[120:121]
	v_fma_f64 v[120:121], s[18:19], v[82:83], v[6:7]
	v_fmac_f64_e32 v[6:7], s[20:21], v[82:83]
	v_add_f64 v[82:83], v[90:91], v[80:81]
	v_fmac_f64_e32 v[122:123], -0.5, v[96:97]
	v_fmac_f64_e32 v[130:131], s[18:19], v[96:97]
	v_add_f64 v[96:97], v[82:83], v[86:87]
	v_add_f64 v[82:83], v[80:81], v[86:87]
	v_fmac_f64_e32 v[90:91], -0.5, v[82:83]
	v_add_f64 v[82:83], v[48:49], -v[94:95]
	v_add_f64 v[0:1], v[0:1], v[98:99]
	v_fma_f64 v[98:99], s[20:21], v[82:83], v[90:91]
	v_fmac_f64_e32 v[90:91], s[18:19], v[82:83]
	v_add_f64 v[82:83], v[92:93], v[48:49]
	v_add_f64 v[48:49], v[48:49], v[94:95]
	;; [unrolled: 1-line block ×3, first 2 shown]
	v_add_f64 v[14:15], v[14:15], -v[124:125]
	v_mul_f64 v[124:125], v[62:63], 0.5
	v_fmac_f64_e32 v[92:93], -0.5, v[48:49]
	v_add_f64 v[48:49], v[80:81], -v[86:87]
	v_add_f64 v[68:69], v[8:9], v[122:123]
	v_fmac_f64_e32 v[124:125], s[18:19], v[70:71]
	v_add_f64 v[8:9], v[8:9], -v[122:123]
	v_add_f64 v[122:123], v[82:83], v[94:95]
	v_fma_f64 v[82:83], s[18:19], v[48:49], v[92:93]
	v_add_f64 v[62:63], v[74:75], v[124:125]
	v_add_f64 v[74:75], v[74:75], -v[124:125]
	v_fmac_f64_e32 v[92:93], s[20:21], v[48:49]
	v_mul_f64 v[48:49], v[82:83], s[20:21]
	v_mul_f64 v[124:125], v[82:83], 0.5
	v_fmac_f64_e32 v[48:49], 0.5, v[98:99]
	v_add_f64 v[86:87], v[2:3], v[122:123]
	v_fmac_f64_e32 v[124:125], s[18:19], v[98:99]
	v_add_f64 v[98:99], v[2:3], -v[122:123]
	v_add_f64 v[2:3], v[106:107], v[116:117]
	v_add_f64 v[70:71], v[10:11], v[130:131]
	v_add_f64 v[10:11], v[10:11], -v[130:131]
	v_add_f64 v[84:85], v[0:1], v[96:97]
	v_add_f64 v[80:81], v[102:103], v[48:49]
	v_mul_f64 v[94:95], v[92:93], s[20:21]
	v_mul_f64 v[130:131], v[92:93], -0.5
	v_add_f64 v[96:97], v[0:1], -v[96:97]
	v_add_f64 v[92:93], v[102:103], -v[48:49]
	v_add_f64 v[0:1], v[136:137], v[106:107]
	v_fmac_f64_e32 v[136:137], -0.5, v[2:3]
	v_add_f64 v[2:3], v[114:115], -v[118:119]
	v_add_f64 v[102:103], v[114:115], v[118:119]
	v_fma_f64 v[48:49], s[20:21], v[2:3], v[136:137]
	v_fmac_f64_e32 v[136:137], s[18:19], v[2:3]
	v_add_f64 v[2:3], v[138:139], v[114:115]
	v_fmac_f64_e32 v[138:139], -0.5, v[102:103]
	v_add_f64 v[102:103], v[106:107], -v[116:117]
	v_fma_f64 v[114:115], s[18:19], v[102:103], v[138:139]
	v_fmac_f64_e32 v[138:139], s[20:21], v[102:103]
	v_add_f64 v[102:103], v[110:111], v[100:101]
	v_add_f64 v[0:1], v[0:1], v[116:117]
	;; [unrolled: 1-line block ×4, first 2 shown]
	v_fmac_f64_e32 v[110:111], -0.5, v[102:103]
	v_add_f64 v[102:103], v[50:51], -v[108:109]
	v_add_f64 v[2:3], v[2:3], v[118:119]
	v_fma_f64 v[118:119], s[20:21], v[102:103], v[110:111]
	v_fmac_f64_e32 v[110:111], s[18:19], v[102:103]
	v_add_f64 v[102:103], v[112:113], v[50:51]
	v_add_f64 v[50:51], v[50:51], v[108:109]
	v_fmac_f64_e32 v[94:95], -0.5, v[90:91]
	v_fmac_f64_e32 v[112:113], -0.5, v[50:51]
	v_add_f64 v[50:51], v[100:101], -v[104:105]
	v_add_f64 v[88:89], v[4:5], v[94:95]
	v_add_f64 v[82:83], v[120:121], v[124:125]
	v_add_f64 v[4:5], v[4:5], -v[94:95]
	v_add_f64 v[94:95], v[120:121], -v[124:125]
	v_add_f64 v[120:121], v[102:103], v[108:109]
	v_fma_f64 v[102:103], s[18:19], v[50:51], v[112:113]
	v_fmac_f64_e32 v[112:113], s[20:21], v[50:51]
	v_mul_f64 v[50:51], v[102:103], s[20:21]
	v_fmac_f64_e32 v[130:131], s[18:19], v[90:91]
	v_fmac_f64_e32 v[50:51], 0.5, v[118:119]
	v_add_f64 v[90:91], v[6:7], v[130:131]
	v_add_f64 v[6:7], v[6:7], -v[130:131]
	v_add_f64 v[100:101], v[48:49], v[50:51]
	v_mul_f64 v[122:123], v[112:113], s[20:21]
	v_mul_f64 v[130:131], v[112:113], -0.5
	v_add_f64 v[112:113], v[48:49], -v[50:51]
	s_barrier
	buffer_load_dword v48, off, s[44:47], 0 offset:680 ; 4-byte Folded Reload
	s_waitcnt vmcnt(0)
	ds_write_b128 v48, v[24:27]
	ds_write_b128 v48, v[20:23] offset:960
	ds_write_b128 v48, v[28:31] offset:1920
	ds_write_b128 v48, v[36:39] offset:2880
	ds_write_b128 v48, v[32:35] offset:3840
	ds_write_b128 v48, v[16:19] offset:4800
	buffer_load_dword v16, off, s[44:47], 0 offset:676 ; 4-byte Folded Reload
	s_waitcnt vmcnt(0)
	ds_write_b128 v16, v[44:47]
	ds_write_b128 v16, v[40:43] offset:960
	ds_write_b128 v16, v[126:129] offset:1920
	ds_write_b128 v16, v[56:59] offset:2880
	ds_write_b128 v16, v[52:55] offset:3840
	ds_write_b128 v16, v[12:15] offset:4800
	;; [unrolled: 8-line block ×4, first 2 shown]
	buffer_load_dword v4, off, s[44:47], 0 offset:648 ; 4-byte Folded Reload
	v_mul_f64 v[124:125], v[102:103], 0.5
	v_fmac_f64_e32 v[122:123], -0.5, v[110:111]
	v_fmac_f64_e32 v[124:125], s[18:19], v[118:119]
	v_add_f64 v[104:105], v[0:1], v[116:117]
	v_add_f64 v[108:109], v[136:137], v[122:123]
	;; [unrolled: 1-line block ×3, first 2 shown]
	v_fmac_f64_e32 v[130:131], s[18:19], v[110:111]
	v_add_f64 v[116:117], v[0:1], -v[116:117]
	v_add_f64 v[0:1], v[136:137], -v[122:123]
	;; [unrolled: 1-line block ×3, first 2 shown]
	v_accvgpr_read_b32 v125, a85
	v_add_f64 v[106:107], v[2:3], v[120:121]
	v_add_f64 v[110:111], v[138:139], v[130:131]
	v_add_f64 v[118:119], v[2:3], -v[120:121]
	v_add_f64 v[2:3], v[138:139], -v[130:131]
	v_accvgpr_read_b32 v124, a84
	s_waitcnt vmcnt(0)
	ds_write_b128 v4, v[104:107]
	ds_write_b128 v4, v[100:103] offset:960
	ds_write_b128 v4, v[108:111] offset:1920
	;; [unrolled: 1-line block ×5, first 2 shown]
	s_waitcnt lgkmcnt(0)
	s_barrier
	ds_read_b128 v[56:59], v242
	ds_read_b128 v[116:119], v242 offset:23040
	ds_read_b128 v[52:55], v242 offset:1536
	;; [unrolled: 1-line block ×29, first 2 shown]
	v_accvgpr_read_b32 v123, a83
	v_accvgpr_read_b32 v122, a82
	s_waitcnt lgkmcnt(14)
	v_mul_f64 v[120:121], v[124:125], v[118:119]
	v_fmac_f64_e32 v[120:121], v[122:123], v[116:117]
	v_mul_f64 v[116:117], v[124:125], v[116:117]
	v_fma_f64 v[116:117], v[122:123], v[118:119], -v[116:117]
	v_accvgpr_read_b32 v122, a232
	v_accvgpr_read_b32 v124, a234
	v_accvgpr_read_b32 v125, a235
	v_accvgpr_read_b32 v123, a233
	v_mul_f64 v[118:119], v[124:125], v[114:115]
	v_fmac_f64_e32 v[118:119], v[122:123], v[112:113]
	v_mul_f64 v[112:113], v[124:125], v[112:113]
	v_fma_f64 v[112:113], v[122:123], v[114:115], -v[112:113]
	v_accvgpr_read_b32 v125, a59
	v_accvgpr_read_b32 v124, a58
	v_accvgpr_read_b32 v123, a57
	v_accvgpr_read_b32 v122, a56
	;; [unrolled: 8-line block ×8, first 2 shown]
	s_waitcnt lgkmcnt(12)
	v_mul_f64 v[144:145], v[90:91], v[86:87]
	v_fmac_f64_e32 v[144:145], v[88:89], v[84:85]
	v_mul_f64 v[84:85], v[90:91], v[84:85]
	v_fma_f64 v[234:235], v[88:89], v[86:87], -v[84:85]
	v_accvgpr_read_b32 v87, a15
	v_accvgpr_read_b32 v86, a14
	v_accvgpr_read_b32 v85, a13
	v_accvgpr_read_b32 v84, a12
	s_waitcnt lgkmcnt(10)
	v_mul_f64 v[236:237], v[86:87], v[82:83]
	v_fmac_f64_e32 v[236:237], v[84:85], v[80:81]
	v_mul_f64 v[80:81], v[86:87], v[80:81]
	v_fma_f64 v[238:239], v[84:85], v[82:83], -v[80:81]
	v_accvgpr_read_b32 v83, a11
	v_accvgpr_read_b32 v82, a10
	v_accvgpr_read_b32 v81, a9
	v_accvgpr_read_b32 v80, a8
	;; [unrolled: 9-line block ×3, first 2 shown]
	s_waitcnt lgkmcnt(6)
	v_mul_f64 v[246:247], v[78:79], v[74:75]
	v_fmac_f64_e32 v[246:247], v[76:77], v[72:73]
	v_mul_f64 v[72:73], v[78:79], v[72:73]
	v_fma_f64 v[72:73], v[76:77], v[74:75], -v[72:73]
	v_accvgpr_read_b32 v79, a3
	v_accvgpr_read_b32 v78, a2
	s_waitcnt lgkmcnt(2)
	v_mul_f64 v[82:83], v[254:255], v[66:67]
	v_accvgpr_read_b32 v77, a1
	v_accvgpr_read_b32 v76, a0
	v_mul_f64 v[74:75], v[78:79], v[70:71]
	v_fmac_f64_e32 v[82:83], v[252:253], v[64:65]
	v_mul_f64 v[64:65], v[254:255], v[64:65]
	s_waitcnt lgkmcnt(0)
	v_mul_f64 v[254:255], v[250:251], v[62:63]
	v_add_f64 v[98:99], v[50:51], -v[122:123]
	v_fmac_f64_e32 v[74:75], v[76:77], v[68:69]
	v_mul_f64 v[68:69], v[78:79], v[68:69]
	v_fmac_f64_e32 v[254:255], v[248:249], v[60:61]
	v_mul_f64 v[60:61], v[250:251], v[60:61]
	v_add_f64 v[88:89], v[56:57], -v[120:121]
	v_add_f64 v[90:91], v[58:59], -v[116:117]
	;; [unrolled: 1-line block ×4, first 2 shown]
	v_fma_f64 v[114:115], v[50:51], 2.0, -v[98:99]
	v_add_f64 v[100:101], v[44:45], -v[124:125]
	v_add_f64 v[102:103], v[46:47], -v[126:127]
	v_add_f64 v[50:51], v[26:27], -v[234:235]
	v_fma_f64 v[80:81], v[76:77], v[70:71], -v[68:69]
	v_fma_f64 v[248:249], v[248:249], v[62:63], -v[60:61]
	v_fma_f64 v[104:105], v[56:57], 2.0, -v[88:89]
	v_fma_f64 v[106:107], v[58:59], 2.0, -v[90:91]
	v_add_f64 v[92:93], v[52:53], -v[118:119]
	v_fma_f64 v[110:111], v[54:55], 2.0, -v[94:95]
	v_fma_f64 v[116:117], v[44:45], 2.0, -v[100:101]
	;; [unrolled: 1-line block ×3, first 2 shown]
	v_add_f64 v[76:77], v[40:41], -v[128:129]
	v_add_f64 v[78:79], v[42:43], -v[130:131]
	;; [unrolled: 1-line block ×8, first 2 shown]
	v_fma_f64 v[54:55], v[26:27], 2.0, -v[50:51]
	v_add_f64 v[26:27], v[14:15], -v[72:73]
	v_accvgpr_read_b32 v72, a81
	v_fma_f64 v[252:253], v[252:253], v[66:67], -v[64:65]
	v_fma_f64 v[108:109], v[52:53], 2.0, -v[92:93]
	v_fma_f64 v[112:113], v[48:49], 2.0, -v[96:97]
	;; [unrolled: 1-line block ×10, first 2 shown]
	v_add_f64 v[48:49], v[24:25], -v[144:145]
	s_barrier
	ds_write_b128 v242, v[104:107]
	ds_write_b128 v242, v[88:91] offset:5760
	ds_write_b128 v242, v[108:111] offset:1536
	;; [unrolled: 1-line block ×5, first 2 shown]
	ds_write_b128 v72, v[116:119]
	ds_write_b128 v72, v[100:103] offset:5760
	ds_write_b128 v242, v[84:87] offset:11904
	;; [unrolled: 1-line block ×7, first 2 shown]
	v_accvgpr_read_b32 v60, a94
	v_fma_f64 v[52:53], v[24:25], 2.0, -v[48:49]
	v_add_f64 v[40:41], v[20:21], -v[236:237]
	v_add_f64 v[42:43], v[22:23], -v[238:239]
	ds_write_b128 v60, v[64:67]
	ds_write_b128 v60, v[56:59] offset:5760
	v_accvgpr_read_b32 v56, a95
	v_fma_f64 v[44:45], v[20:21], 2.0, -v[40:41]
	v_fma_f64 v[46:47], v[22:23], 2.0, -v[42:43]
	v_add_f64 v[32:33], v[16:17], -v[240:241]
	v_add_f64 v[34:35], v[18:19], -v[244:245]
	ds_write_b128 v56, v[52:55] offset:23040
	ds_write_b128 v56, v[48:51] offset:28800
	v_accvgpr_read_b32 v48, a108
	v_fma_f64 v[36:37], v[16:17], 2.0, -v[32:33]
	v_fma_f64 v[38:39], v[18:19], 2.0, -v[34:35]
	v_add_f64 v[24:25], v[12:13], -v[246:247]
	ds_write_b128 v48, v[44:47] offset:23040
	ds_write_b128 v48, v[40:43] offset:28800
	v_accvgpr_read_b32 v40, a109
	v_fma_f64 v[28:29], v[12:13], 2.0, -v[24:25]
	v_fma_f64 v[30:31], v[14:15], 2.0, -v[26:27]
	v_add_f64 v[16:17], v[8:9], -v[74:75]
	v_add_f64 v[18:19], v[10:11], -v[80:81]
	ds_write_b128 v40, v[36:39] offset:23040
	ds_write_b128 v40, v[32:35] offset:28800
	v_accvgpr_read_b32 v32, a166
	v_fma_f64 v[20:21], v[8:9], 2.0, -v[16:17]
	v_fma_f64 v[22:23], v[10:11], 2.0, -v[18:19]
	ds_write_b128 v32, v[28:31]
	ds_write_b128 v32, v[24:27] offset:5760
	v_accvgpr_read_b32 v24, a167
	ds_write_b128 v24, v[20:23] offset:34560
	ds_write_b128 v24, v[16:19] offset:40320
	buffer_load_dword v16, off, s[44:47], 0 offset:720 ; 4-byte Folded Reload
	v_add_f64 v[8:9], v[4:5], -v[82:83]
	v_add_f64 v[10:11], v[6:7], -v[252:253]
	v_fma_f64 v[12:13], v[4:5], 2.0, -v[8:9]
	v_fma_f64 v[14:15], v[6:7], 2.0, -v[10:11]
	s_waitcnt vmcnt(0)
	ds_write_b128 v16, v[12:15] offset:34560
	ds_write_b128 v16, v[8:11] offset:40320
	buffer_load_dword v8, off, s[44:47], 0 offset:700 ; 4-byte Folded Reload
	v_add_f64 v[4:5], v[0:1], -v[254:255]
	v_add_f64 v[6:7], v[2:3], -v[248:249]
	v_accvgpr_read_b32 v125, a23
	v_fma_f64 v[0:1], v[0:1], 2.0, -v[4:5]
	v_fma_f64 v[2:3], v[2:3], 2.0, -v[6:7]
	v_accvgpr_read_b32 v124, a22
	s_waitcnt vmcnt(0)
	ds_write_b128 v8, v[0:3] offset:34560
	ds_write_b128 v8, v[4:7] offset:40320
	s_waitcnt lgkmcnt(0)
	s_barrier
	ds_read_b128 v[56:59], v242
	ds_read_b128 v[116:119], v242 offset:23040
	ds_read_b128 v[52:55], v242 offset:1536
	;; [unrolled: 1-line block ×29, first 2 shown]
	v_accvgpr_read_b32 v123, a21
	v_accvgpr_read_b32 v122, a20
	s_waitcnt lgkmcnt(14)
	v_mul_f64 v[120:121], v[124:125], v[118:119]
	v_fmac_f64_e32 v[120:121], v[122:123], v[116:117]
	v_mul_f64 v[116:117], v[124:125], v[116:117]
	v_fma_f64 v[116:117], v[122:123], v[118:119], -v[116:117]
	v_accvgpr_read_b32 v125, a27
	v_accvgpr_read_b32 v124, a26
	v_accvgpr_read_b32 v123, a25
	v_accvgpr_read_b32 v122, a24
	v_mul_f64 v[118:119], v[124:125], v[114:115]
	v_fmac_f64_e32 v[118:119], v[122:123], v[112:113]
	v_mul_f64 v[112:113], v[124:125], v[112:113]
	v_fma_f64 v[112:113], v[122:123], v[114:115], -v[112:113]
	v_accvgpr_read_b32 v125, a31
	v_accvgpr_read_b32 v124, a30
	v_accvgpr_read_b32 v123, a29
	v_accvgpr_read_b32 v122, a28
	;; [unrolled: 8-line block ×6, first 2 shown]
	v_mul_f64 v[124:125], v[98:99], v[94:95]
	v_fmac_f64_e32 v[124:125], v[96:97], v[92:93]
	v_mul_f64 v[92:93], v[98:99], v[92:93]
	s_waitcnt lgkmcnt(6)
	v_mul_f64 v[144:145], v[220:221], v[74:75]
	v_fma_f64 v[126:127], v[96:97], v[94:95], -v[92:93]
	v_accvgpr_read_b32 v95, a19
	v_mul_f64 v[132:133], v[232:233], v[86:87]
	v_mul_f64 v[136:137], v[228:229], v[82:83]
	v_fmac_f64_e32 v[144:145], v[218:219], v[72:73]
	v_mul_f64 v[72:73], v[220:221], v[72:73]
	s_waitcnt lgkmcnt(4)
	v_mul_f64 v[220:221], v[216:217], v[70:71]
	v_accvgpr_read_b32 v94, a18
	v_fmac_f64_e32 v[132:133], v[230:231], v[84:85]
	v_mul_f64 v[84:85], v[232:233], v[84:85]
	v_fmac_f64_e32 v[136:137], v[226:227], v[80:81]
	v_mul_f64 v[80:81], v[228:229], v[80:81]
	;; [unrolled: 2-line block ×3, first 2 shown]
	s_waitcnt lgkmcnt(2)
	v_mul_f64 v[216:217], v[208:209], v[66:67]
	v_accvgpr_read_b32 v93, a17
	v_accvgpr_read_b32 v92, a16
	v_mul_f64 v[128:129], v[94:95], v[90:91]
	v_fma_f64 v[134:135], v[230:231], v[86:87], -v[84:85]
	v_fma_f64 v[138:139], v[226:227], v[82:83], -v[80:81]
	v_fmac_f64_e32 v[216:217], v[206:207], v[64:65]
	v_mul_f64 v[64:65], v[208:209], v[64:65]
	s_waitcnt lgkmcnt(0)
	v_mul_f64 v[208:209], v[200:201], v[62:63]
	v_add_f64 v[84:85], v[36:37], -v[102:103]
	v_add_f64 v[86:87], v[38:39], -v[122:123]
	v_fmac_f64_e32 v[128:129], v[92:93], v[88:89]
	v_mul_f64 v[88:89], v[94:95], v[88:89]
	v_mul_f64 v[140:141], v[224:225], v[78:79]
	v_fma_f64 v[218:219], v[218:219], v[74:75], -v[72:73]
	v_fma_f64 v[206:207], v[206:207], v[66:67], -v[64:65]
	v_fmac_f64_e32 v[208:209], v[198:199], v[60:61]
	v_mul_f64 v[60:61], v[200:201], v[60:61]
	v_add_f64 v[64:65], v[48:49], -v[114:115]
	v_add_f64 v[66:67], v[50:51], -v[108:109]
	;; [unrolled: 1-line block ×3, first 2 shown]
	v_fma_f64 v[100:101], v[36:37], 2.0, -v[84:85]
	v_fma_f64 v[102:103], v[38:39], 2.0, -v[86:87]
	v_add_f64 v[36:37], v[20:21], -v[136:137]
	v_add_f64 v[38:39], v[22:23], -v[138:139]
	v_fma_f64 v[130:131], v[92:93], v[90:91], -v[88:89]
	v_fmac_f64_e32 v[140:141], v[222:223], v[76:77]
	v_mul_f64 v[76:77], v[224:225], v[76:77]
	v_fma_f64 v[214:215], v[214:215], v[70:71], -v[68:69]
	v_fma_f64 v[198:199], v[198:199], v[62:63], -v[60:61]
	v_add_f64 v[60:61], v[56:57], -v[120:121]
	v_add_f64 v[62:63], v[58:59], -v[116:117]
	v_fma_f64 v[88:89], v[48:49], 2.0, -v[64:65]
	v_fma_f64 v[90:91], v[50:51], 2.0, -v[66:67]
	v_add_f64 v[68:69], v[44:45], -v[110:111]
	v_add_f64 v[70:71], v[46:47], -v[104:105]
	;; [unrolled: 1-line block ×5, first 2 shown]
	v_fma_f64 v[48:49], v[20:21], 2.0, -v[36:37]
	v_fma_f64 v[50:51], v[22:23], 2.0, -v[38:39]
	v_add_f64 v[20:21], v[12:13], -v[144:145]
	v_add_f64 v[22:23], v[14:15], -v[218:219]
	v_fma_f64 v[142:143], v[222:223], v[78:79], -v[76:77]
	v_fma_f64 v[72:73], v[56:57], 2.0, -v[60:61]
	v_fma_f64 v[74:75], v[58:59], 2.0, -v[62:63]
	v_add_f64 v[56:57], v[52:53], -v[118:119]
	v_add_f64 v[58:59], v[54:55], -v[112:113]
	v_fma_f64 v[92:93], v[44:45], 2.0, -v[68:69]
	v_fma_f64 v[94:95], v[46:47], 2.0, -v[70:71]
	;; [unrolled: 1-line block ×4, first 2 shown]
	v_add_f64 v[112:113], v[28:29], -v[128:129]
	v_add_f64 v[114:115], v[30:31], -v[130:131]
	;; [unrolled: 1-line block ×4, first 2 shown]
	v_fma_f64 v[32:33], v[12:13], 2.0, -v[20:21]
	v_fma_f64 v[34:35], v[14:15], 2.0, -v[22:23]
	v_add_f64 v[12:13], v[8:9], -v[220:221]
	v_add_f64 v[14:15], v[10:11], -v[214:215]
	v_fma_f64 v[76:77], v[52:53], 2.0, -v[56:57]
	v_fma_f64 v[78:79], v[54:55], 2.0, -v[58:59]
	;; [unrolled: 1-line block ×6, first 2 shown]
	v_add_f64 v[28:29], v[16:17], -v[140:141]
	v_add_f64 v[30:31], v[18:19], -v[142:143]
	v_fma_f64 v[24:25], v[8:9], 2.0, -v[12:13]
	v_fma_f64 v[26:27], v[10:11], 2.0, -v[14:15]
	v_add_f64 v[8:9], v[4:5], -v[216:217]
	v_add_f64 v[10:11], v[6:7], -v[206:207]
	v_fma_f64 v[96:97], v[40:41], 2.0, -v[80:81]
	v_fma_f64 v[98:99], v[42:43], 2.0, -v[82:83]
	;; [unrolled: 1-line block ×6, first 2 shown]
	v_add_f64 v[4:5], v[0:1], -v[208:209]
	v_add_f64 v[6:7], v[2:3], -v[198:199]
	v_fma_f64 v[0:1], v[0:1], 2.0, -v[4:5]
	v_fma_f64 v[2:3], v[2:3], 2.0, -v[6:7]
	s_barrier
	ds_write_b128 v242, v[72:75]
	ds_write_b128 v242, v[60:63] offset:11520
	ds_write_b128 v242, v[76:79] offset:1536
	;; [unrolled: 1-line block ×13, first 2 shown]
	v_accvgpr_read_b32 v56, a80
	ds_write_b128 v56, v[116:119]
	ds_write_b128 v56, v[112:115] offset:11520
	ds_write_b128 v242, v[52:55] offset:23808
	ds_write_b128 v242, v[44:47] offset:35328
	ds_write_b128 v242, v[48:51] offset:25344
	ds_write_b128 v242, v[36:39] offset:36864
	ds_write_b128 v242, v[40:43] offset:26880
	ds_write_b128 v242, v[28:31] offset:38400
	ds_write_b128 v242, v[32:35] offset:28416
	ds_write_b128 v242, v[20:23] offset:39936
	ds_write_b128 v242, v[24:27] offset:29952
	ds_write_b128 v242, v[12:15] offset:41472
	ds_write_b128 v242, v[16:19] offset:31488
	ds_write_b128 v242, v[8:11] offset:43008
	ds_write_b128 v242, v[0:3] offset:33024
	ds_write_b128 v242, v[4:7] offset:44544
	s_waitcnt lgkmcnt(0)
	s_barrier
	ds_read_b128 v[24:27], v242
	ds_read_b128 v[60:63], v242 offset:23040
	ds_read_b128 v[36:39], v242 offset:1536
	ds_read_b128 v[68:71], v242 offset:24576
	ds_read_b128 v[28:31], v242 offset:3072
	ds_read_b128 v[84:87], v242 offset:26112
	ds_read_b128 v[48:51], v242 offset:4608
	ds_read_b128 v[96:99], v242 offset:27648
	ds_read_b128 v[44:47], v242 offset:6144
	ds_read_b128 v[112:115], v242 offset:29184
	ds_read_b128 v[56:59], v242 offset:7680
	ds_read_b128 v[116:119], v242 offset:30720
	ds_read_b128 v[52:55], v242 offset:9216
	ds_read_b128 v[108:111], v242 offset:32256
	ds_read_b128 v[40:43], v242 offset:10752
	ds_read_b128 v[104:107], v242 offset:33792
	ds_read_b128 v[32:35], v242 offset:12288
	ds_read_b128 v[100:103], v242 offset:35328
	ds_read_b128 v[20:23], v242 offset:13824
	ds_read_b128 v[92:95], v242 offset:36864
	ds_read_b128 v[16:19], v242 offset:15360
	ds_read_b128 v[88:91], v242 offset:38400
	ds_read_b128 v[12:15], v242 offset:16896
	ds_read_b128 v[80:83], v242 offset:39936
	ds_read_b128 v[8:11], v242 offset:18432
	ds_read_b128 v[76:79], v242 offset:41472
	ds_read_b128 v[4:7], v242 offset:19968
	ds_read_b128 v[72:75], v242 offset:43008
	ds_read_b128 v[0:3], v242 offset:21504
	ds_read_b128 v[64:67], v242 offset:44544
	s_waitcnt lgkmcnt(14)
	v_mul_f64 v[120:121], v[212:213], v[62:63]
	v_fmac_f64_e32 v[120:121], v[210:211], v[60:61]
	v_mul_f64 v[60:61], v[212:213], v[60:61]
	v_fma_f64 v[62:63], v[210:211], v[62:63], -v[60:61]
	v_mul_f64 v[122:123], v[204:205], v[70:71]
	v_mul_f64 v[60:61], v[204:205], v[68:69]
	v_fmac_f64_e32 v[122:123], v[202:203], v[68:69]
	v_fma_f64 v[68:69], v[202:203], v[70:71], -v[60:61]
	v_mul_f64 v[70:71], v[196:197], v[86:87]
	v_mul_f64 v[60:61], v[196:197], v[84:85]
	v_fmac_f64_e32 v[70:71], v[194:195], v[84:85]
	;; [unrolled: 4-line block ×7, first 2 shown]
	v_fma_f64 v[104:105], v[174:175], v[106:107], -v[60:61]
	s_waitcnt lgkmcnt(12)
	v_mul_f64 v[106:107], v[172:173], v[102:103]
	v_mul_f64 v[60:61], v[172:173], v[100:101]
	v_fmac_f64_e32 v[106:107], v[170:171], v[100:101]
	v_fma_f64 v[100:101], v[170:171], v[102:103], -v[60:61]
	s_waitcnt lgkmcnt(10)
	v_mul_f64 v[60:61], v[168:169], v[92:93]
	v_fma_f64 v[124:125], v[166:167], v[94:95], -v[60:61]
	s_waitcnt lgkmcnt(8)
	v_mul_f64 v[60:61], v[164:165], v[88:89]
	;; [unrolled: 3-line block ×5, first 2 shown]
	v_mul_f64 v[134:135], v[156:157], v[78:79]
	v_fma_f64 v[140:141], v[150:151], v[74:75], -v[60:61]
	s_waitcnt lgkmcnt(0)
	v_mul_f64 v[142:143], v[148:149], v[66:67]
	v_mul_f64 v[60:61], v[148:149], v[64:65]
	;; [unrolled: 1-line block ×5, first 2 shown]
	v_fmac_f64_e32 v[134:135], v[154:155], v[76:77]
	v_mul_f64 v[138:139], v[152:153], v[74:75]
	v_fmac_f64_e32 v[142:143], v[146:147], v[64:65]
	v_fma_f64 v[144:145], v[146:147], v[66:67], -v[60:61]
	v_fmac_f64_e32 v[102:103], v[166:167], v[92:93]
	v_fmac_f64_e32 v[126:127], v[162:163], v[88:89]
	;; [unrolled: 1-line block ×4, first 2 shown]
	v_add_f64 v[60:61], v[24:25], -v[120:121]
	v_add_f64 v[62:63], v[26:27], -v[62:63]
	;; [unrolled: 1-line block ×14, first 2 shown]
	v_fma_f64 v[24:25], v[24:25], 2.0, -v[60:61]
	v_fma_f64 v[26:27], v[26:27], 2.0, -v[62:63]
	v_add_f64 v[64:65], v[36:37], -v[122:123]
	v_add_f64 v[74:75], v[50:51], -v[96:97]
	;; [unrolled: 1-line block ×15, first 2 shown]
	v_fma_f64 v[8:9], v[8:9], 2.0, -v[108:109]
	v_add_f64 v[112:113], v[4:5], -v[138:139]
	v_fma_f64 v[6:7], v[6:7], 2.0, -v[114:115]
	v_fma_f64 v[0:1], v[0:1], 2.0, -v[116:117]
	;; [unrolled: 1-line block ×27, first 2 shown]
	ds_write_b128 v242, v[24:27]
	ds_write_b128 v242, v[60:63] offset:23040
	ds_write_b128 v242, v[36:39] offset:1536
	;; [unrolled: 1-line block ×29, first 2 shown]
	s_waitcnt lgkmcnt(0)
	s_barrier
	ds_read_b128 v[0:3], v242
	buffer_load_dword v6, off, s[44:47], 0 offset:16 ; 4-byte Folded Reload
	buffer_load_dword v7, off, s[44:47], 0 offset:20 ; 4-byte Folded Reload
	;; [unrolled: 1-line block ×4, first 2 shown]
	s_waitcnt vmcnt(0) lgkmcnt(0)
	v_mul_f64 v[4:5], v[8:9], v[2:3]
	v_fmac_f64_e32 v[4:5], v[6:7], v[0:1]
	v_mul_f64 v[0:1], v[8:9], v[0:1]
	v_fma_f64 v[0:1], v[6:7], v[2:3], -v[0:1]
	buffer_load_dword v3, off, s[44:47], 0 offset:628 ; 4-byte Folded Reload
	v_mul_f64 v[6:7], v[0:1], s[2:3]
	v_mov_b32_e32 v8, s13
	v_mul_f64 v[4:5], v[4:5], s[2:3]
	s_waitcnt vmcnt(0)
	v_mad_u64_u32 v[0:1], s[4:5], s0, v3, 0
	v_mov_b32_e32 v2, v1
	v_mad_u64_u32 v[2:3], s[4:5], s1, v3, v[2:3]
	v_mov_b32_e32 v1, v2
	buffer_load_dword v2, off, s[44:47], 0 offset:508 ; 4-byte Folded Reload
	buffer_load_dword v3, off, s[44:47], 0 offset:512 ; 4-byte Folded Reload
	v_lshlrev_b64 v[0:1], 4, v[0:1]
	s_waitcnt vmcnt(0)
	v_lshlrev_b64 v[2:3], 4, v[2:3]
	v_add_co_u32_e32 v2, vcc, s12, v2
	v_addc_co_u32_e32 v3, vcc, v8, v3, vcc
	v_add_co_u32_e32 v0, vcc, v2, v0
	v_addc_co_u32_e32 v1, vcc, v3, v1, vcc
	global_store_dwordx4 v[0:1], v[4:7], off
	ds_read_b128 v[4:7], v242 offset:4608
	buffer_load_dword v10, off, s[44:47], 0 offset:48 ; 4-byte Folded Reload
	buffer_load_dword v11, off, s[44:47], 0 offset:52 ; 4-byte Folded Reload
	;; [unrolled: 1-line block ×4, first 2 shown]
	s_waitcnt vmcnt(0) lgkmcnt(0)
	v_mul_f64 v[8:9], v[12:13], v[6:7]
	v_fmac_f64_e32 v[8:9], v[10:11], v[4:5]
	v_mul_f64 v[4:5], v[12:13], v[4:5]
	v_mov_b32_e32 v12, 0x1200
	v_mad_u64_u32 v[0:1], s[4:5], s0, v12, v[0:1]
	v_fma_f64 v[4:5], v[10:11], v[6:7], -v[4:5]
	s_mul_i32 s4, s1, 0x1200
	v_mul_f64 v[8:9], v[8:9], s[2:3]
	v_mul_f64 v[10:11], v[4:5], s[2:3]
	v_add_u32_e32 v1, s4, v1
	global_store_dwordx4 v[0:1], v[8:11], off
	ds_read_b128 v[4:7], v242 offset:9216
	buffer_load_dword v14, off, s[44:47], 0 offset:80 ; 4-byte Folded Reload
	buffer_load_dword v15, off, s[44:47], 0 offset:84 ; 4-byte Folded Reload
	;; [unrolled: 1-line block ×4, first 2 shown]
	v_mad_u64_u32 v[0:1], s[6:7], s0, v12, v[0:1]
	v_add_u32_e32 v1, s4, v1
	s_mul_i32 s5, s1, 0x2400
	s_waitcnt vmcnt(0) lgkmcnt(0)
	v_mul_f64 v[8:9], v[16:17], v[6:7]
	v_fmac_f64_e32 v[8:9], v[14:15], v[4:5]
	v_mul_f64 v[4:5], v[16:17], v[4:5]
	v_fma_f64 v[4:5], v[14:15], v[6:7], -v[4:5]
	v_mul_f64 v[8:9], v[8:9], s[2:3]
	v_mul_f64 v[10:11], v[4:5], s[2:3]
	global_store_dwordx4 v[0:1], v[8:11], off
	ds_read_b128 v[4:7], v242 offset:13824
	buffer_load_dword v10, off, s[44:47], 0 offset:144 ; 4-byte Folded Reload
	buffer_load_dword v11, off, s[44:47], 0 offset:148 ; 4-byte Folded Reload
	;; [unrolled: 1-line block ×4, first 2 shown]
	v_mov_b32_e32 v14, 0x1200
	v_mad_u64_u32 v[0:1], s[6:7], s0, v14, v[0:1]
	v_add_u32_e32 v1, s4, v1
	v_mov_b32_e32 v15, 0x2400
	s_waitcnt vmcnt(0) lgkmcnt(0)
	v_mul_f64 v[8:9], v[12:13], v[6:7]
	v_fmac_f64_e32 v[8:9], v[10:11], v[4:5]
	v_mul_f64 v[4:5], v[12:13], v[4:5]
	v_fma_f64 v[4:5], v[10:11], v[6:7], -v[4:5]
	v_mul_f64 v[8:9], v[8:9], s[2:3]
	v_mul_f64 v[10:11], v[4:5], s[2:3]
	global_store_dwordx4 v[0:1], v[8:11], off
	ds_read_b128 v[4:7], v242 offset:18432
	buffer_load_dword v10, off, s[44:47], 0 offset:192 ; 4-byte Folded Reload
	buffer_load_dword v11, off, s[44:47], 0 offset:196 ; 4-byte Folded Reload
	;; [unrolled: 1-line block ×4, first 2 shown]
	s_waitcnt vmcnt(0) lgkmcnt(0)
	v_mul_f64 v[8:9], v[12:13], v[6:7]
	v_fmac_f64_e32 v[8:9], v[10:11], v[4:5]
	v_mul_f64 v[4:5], v[12:13], v[4:5]
	v_fma_f64 v[4:5], v[10:11], v[6:7], -v[4:5]
	buffer_load_dword v7, off, s[44:47], 0 offset:220 ; 4-byte Folded Reload
	v_mul_f64 v[10:11], v[4:5], s[2:3]
	v_mul_f64 v[8:9], v[8:9], s[2:3]
	s_waitcnt vmcnt(0)
	v_mad_u64_u32 v[4:5], s[6:7], s0, v7, 0
	v_mov_b32_e32 v6, v5
	v_mad_u64_u32 v[6:7], s[6:7], s1, v7, v[6:7]
	v_mov_b32_e32 v5, v6
	v_lshlrev_b64 v[4:5], 4, v[4:5]
	v_add_co_u32_e32 v4, vcc, v2, v4
	v_addc_co_u32_e32 v5, vcc, v3, v5, vcc
	global_store_dwordx4 v[4:5], v[8:11], off
	ds_read_b128 v[4:7], v242 offset:23040
	buffer_load_dword v10, off, s[44:47], 0 offset:344 ; 4-byte Folded Reload
	buffer_load_dword v11, off, s[44:47], 0 offset:348 ; 4-byte Folded Reload
	;; [unrolled: 1-line block ×4, first 2 shown]
	s_waitcnt vmcnt(0) lgkmcnt(0)
	v_mul_f64 v[8:9], v[12:13], v[6:7]
	v_fmac_f64_e32 v[8:9], v[10:11], v[4:5]
	v_mul_f64 v[4:5], v[12:13], v[4:5]
	v_mov_b32_e32 v12, 0x2400
	v_fma_f64 v[4:5], v[10:11], v[6:7], -v[4:5]
	v_mad_u64_u32 v[0:1], s[6:7], s0, v12, v[0:1]
	v_mul_f64 v[8:9], v[8:9], s[2:3]
	v_mul_f64 v[10:11], v[4:5], s[2:3]
	v_add_u32_e32 v1, s5, v1
	global_store_dwordx4 v[0:1], v[8:11], off
	ds_read_b128 v[4:7], v242 offset:27648
	buffer_load_dword v16, off, s[44:47], 0 offset:420 ; 4-byte Folded Reload
	buffer_load_dword v17, off, s[44:47], 0 offset:424 ; 4-byte Folded Reload
	;; [unrolled: 1-line block ×4, first 2 shown]
	v_mad_u64_u32 v[0:1], s[6:7], s0, v14, v[0:1]
	v_add_u32_e32 v1, s4, v1
	s_waitcnt vmcnt(0) lgkmcnt(0)
	v_mul_f64 v[8:9], v[18:19], v[6:7]
	v_fmac_f64_e32 v[8:9], v[16:17], v[4:5]
	v_mul_f64 v[4:5], v[18:19], v[4:5]
	v_fma_f64 v[4:5], v[16:17], v[6:7], -v[4:5]
	v_mul_f64 v[8:9], v[8:9], s[2:3]
	v_mul_f64 v[10:11], v[4:5], s[2:3]
	global_store_dwordx4 v[0:1], v[8:11], off
	ds_read_b128 v[4:7], v242 offset:32256
	buffer_load_dword v16, off, s[44:47], 0 offset:460 ; 4-byte Folded Reload
	buffer_load_dword v17, off, s[44:47], 0 offset:464 ; 4-byte Folded Reload
	;; [unrolled: 1-line block ×4, first 2 shown]
	v_mad_u64_u32 v[0:1], s[6:7], s0, v14, v[0:1]
	v_add_u32_e32 v1, s4, v1
	s_waitcnt vmcnt(0) lgkmcnt(0)
	v_mul_f64 v[8:9], v[18:19], v[6:7]
	v_fmac_f64_e32 v[8:9], v[16:17], v[4:5]
	v_mul_f64 v[4:5], v[18:19], v[4:5]
	v_fma_f64 v[4:5], v[16:17], v[6:7], -v[4:5]
	v_mul_f64 v[8:9], v[8:9], s[2:3]
	v_mul_f64 v[10:11], v[4:5], s[2:3]
	global_store_dwordx4 v[0:1], v[8:11], off
	ds_read_b128 v[4:7], v242 offset:36864
	buffer_load_dword v16, off, s[44:47], 0 offset:492 ; 4-byte Folded Reload
	buffer_load_dword v17, off, s[44:47], 0 offset:496 ; 4-byte Folded Reload
	buffer_load_dword v18, off, s[44:47], 0 offset:500 ; 4-byte Folded Reload
	buffer_load_dword v19, off, s[44:47], 0 offset:504 ; 4-byte Folded Reload
	v_mad_u64_u32 v[0:1], s[6:7], s0, v12, v[0:1]
	v_add_u32_e32 v1, s5, v1
	s_waitcnt vmcnt(0) lgkmcnt(0)
	v_mul_f64 v[8:9], v[18:19], v[6:7]
	v_fmac_f64_e32 v[8:9], v[16:17], v[4:5]
	v_mul_f64 v[4:5], v[18:19], v[4:5]
	v_fma_f64 v[4:5], v[16:17], v[6:7], -v[4:5]
	buffer_load_dword v7, off, s[44:47], 0 offset:12 ; 4-byte Folded Reload
	v_mul_f64 v[10:11], v[4:5], s[2:3]
	v_mul_f64 v[8:9], v[8:9], s[2:3]
	s_waitcnt vmcnt(0)
	v_mad_u64_u32 v[4:5], s[6:7], s0, v7, 0
	v_mov_b32_e32 v6, v5
	v_mad_u64_u32 v[6:7], s[6:7], s1, v7, v[6:7]
	v_mov_b32_e32 v5, v6
	v_lshlrev_b64 v[4:5], 4, v[4:5]
	v_add_co_u32_e32 v4, vcc, v2, v4
	v_addc_co_u32_e32 v5, vcc, v3, v5, vcc
	global_store_dwordx4 v[4:5], v[8:11], off
	ds_read_b128 v[4:7], v242 offset:41472
	buffer_load_dword v16, off, s[44:47], 0 offset:532 ; 4-byte Folded Reload
	buffer_load_dword v17, off, s[44:47], 0 offset:536 ; 4-byte Folded Reload
	;; [unrolled: 1-line block ×4, first 2 shown]
	s_waitcnt vmcnt(0) lgkmcnt(0)
	v_mul_f64 v[8:9], v[18:19], v[6:7]
	v_fmac_f64_e32 v[8:9], v[16:17], v[4:5]
	v_mul_f64 v[4:5], v[18:19], v[4:5]
	v_fma_f64 v[4:5], v[16:17], v[6:7], -v[4:5]
	v_mul_f64 v[8:9], v[8:9], s[2:3]
	v_mul_f64 v[10:11], v[4:5], s[2:3]
	global_store_dwordx4 v[0:1], v[8:11], off
	ds_read_b128 v[4:7], v242 offset:1536
	buffer_load_dword v10, off, s[44:47], 0 offset:32 ; 4-byte Folded Reload
	buffer_load_dword v11, off, s[44:47], 0 offset:36 ; 4-byte Folded Reload
	;; [unrolled: 1-line block ×4, first 2 shown]
	s_waitcnt vmcnt(0) lgkmcnt(0)
	v_mul_f64 v[8:9], v[12:13], v[6:7]
	v_fmac_f64_e32 v[8:9], v[10:11], v[4:5]
	v_mul_f64 v[4:5], v[12:13], v[4:5]
	v_fma_f64 v[4:5], v[10:11], v[6:7], -v[4:5]
	v_mul_f64 v[10:11], v[4:5], s[2:3]
	v_mov_b32_e32 v4, 0xffff6400
	v_mad_u64_u32 v[0:1], s[6:7], s0, v4, v[0:1]
	s_mul_i32 s6, s1, 0xffff6400
	s_sub_i32 s6, s6, s0
	v_mul_f64 v[8:9], v[8:9], s[2:3]
	v_add_u32_e32 v1, s6, v1
	global_store_dwordx4 v[0:1], v[8:11], off
	ds_read_b128 v[4:7], v242 offset:6144
	buffer_load_dword v10, off, s[44:47], 0 offset:64 ; 4-byte Folded Reload
	buffer_load_dword v11, off, s[44:47], 0 offset:68 ; 4-byte Folded Reload
	;; [unrolled: 1-line block ×4, first 2 shown]
	v_mad_u64_u32 v[0:1], s[6:7], s0, v15, v[0:1]
	v_add_u32_e32 v1, s5, v1
	s_waitcnt vmcnt(0) lgkmcnt(0)
	v_mul_f64 v[8:9], v[12:13], v[6:7]
	v_fmac_f64_e32 v[8:9], v[10:11], v[4:5]
	v_mul_f64 v[4:5], v[12:13], v[4:5]
	v_fma_f64 v[4:5], v[10:11], v[6:7], -v[4:5]
	buffer_load_dword v7, off, s[44:47], 0 offset:212 ; 4-byte Folded Reload
	v_mul_f64 v[10:11], v[4:5], s[2:3]
	v_mul_f64 v[8:9], v[8:9], s[2:3]
	s_waitcnt vmcnt(0)
	v_mad_u64_u32 v[4:5], s[6:7], s0, v7, 0
	v_mov_b32_e32 v6, v5
	v_mad_u64_u32 v[6:7], s[6:7], s1, v7, v[6:7]
	v_mov_b32_e32 v5, v6
	v_lshlrev_b64 v[4:5], 4, v[4:5]
	v_add_co_u32_e32 v4, vcc, v2, v4
	v_addc_co_u32_e32 v5, vcc, v3, v5, vcc
	global_store_dwordx4 v[4:5], v[8:11], off
	ds_read_b128 v[4:7], v242 offset:10752
	buffer_load_dword v10, off, s[44:47], 0 offset:96 ; 4-byte Folded Reload
	buffer_load_dword v11, off, s[44:47], 0 offset:100 ; 4-byte Folded Reload
	;; [unrolled: 1-line block ×4, first 2 shown]
	s_waitcnt vmcnt(0) lgkmcnt(0)
	v_mul_f64 v[8:9], v[12:13], v[6:7]
	v_fmac_f64_e32 v[8:9], v[10:11], v[4:5]
	v_mul_f64 v[4:5], v[12:13], v[4:5]
	v_fma_f64 v[4:5], v[10:11], v[6:7], -v[4:5]
	v_mul_f64 v[8:9], v[8:9], s[2:3]
	v_mul_f64 v[10:11], v[4:5], s[2:3]
	global_store_dwordx4 v[0:1], v[8:11], off
	ds_read_b128 v[4:7], v242 offset:15360
	buffer_load_dword v10, off, s[44:47], 0 offset:256 ; 4-byte Folded Reload
	buffer_load_dword v11, off, s[44:47], 0 offset:260 ; 4-byte Folded Reload
	buffer_load_dword v12, off, s[44:47], 0 offset:264 ; 4-byte Folded Reload
	buffer_load_dword v13, off, s[44:47], 0 offset:268 ; 4-byte Folded Reload
	v_mad_u64_u32 v[0:1], s[6:7], s0, v14, v[0:1]
	v_add_u32_e32 v1, s4, v1
	s_waitcnt vmcnt(0) lgkmcnt(0)
	v_mul_f64 v[8:9], v[12:13], v[6:7]
	v_fmac_f64_e32 v[8:9], v[10:11], v[4:5]
	v_mul_f64 v[4:5], v[12:13], v[4:5]
	v_fma_f64 v[4:5], v[10:11], v[6:7], -v[4:5]
	v_mul_f64 v[8:9], v[8:9], s[2:3]
	v_mul_f64 v[10:11], v[4:5], s[2:3]
	global_store_dwordx4 v[0:1], v[8:11], off
	ds_read_b128 v[4:7], v242 offset:19968
	buffer_load_dword v10, off, s[44:47], 0 offset:304 ; 4-byte Folded Reload
	buffer_load_dword v11, off, s[44:47], 0 offset:308 ; 4-byte Folded Reload
	buffer_load_dword v12, off, s[44:47], 0 offset:312 ; 4-byte Folded Reload
	buffer_load_dword v13, off, s[44:47], 0 offset:316 ; 4-byte Folded Reload
	v_mad_u64_u32 v[0:1], s[6:7], s0, v14, v[0:1]
	v_add_u32_e32 v1, s4, v1
	;; [unrolled: 15-line block ×3, first 2 shown]
	s_waitcnt vmcnt(0) lgkmcnt(0)
	v_mul_f64 v[8:9], v[12:13], v[6:7]
	v_fmac_f64_e32 v[8:9], v[10:11], v[4:5]
	v_mul_f64 v[4:5], v[12:13], v[4:5]
	v_fma_f64 v[4:5], v[10:11], v[6:7], -v[4:5]
	buffer_load_dword v7, off, s[44:47], 0  ; 4-byte Folded Reload
	v_mul_f64 v[10:11], v[4:5], s[2:3]
	v_mul_f64 v[8:9], v[8:9], s[2:3]
	s_waitcnt vmcnt(0)
	v_mad_u64_u32 v[4:5], s[6:7], s0, v7, 0
	v_mov_b32_e32 v6, v5
	v_mad_u64_u32 v[6:7], s[6:7], s1, v7, v[6:7]
	v_mov_b32_e32 v5, v6
	v_lshlrev_b64 v[4:5], 4, v[4:5]
	v_add_co_u32_e32 v4, vcc, v2, v4
	v_addc_co_u32_e32 v5, vcc, v3, v5, vcc
	global_store_dwordx4 v[4:5], v[8:11], off
	ds_read_b128 v[4:7], v242 offset:29184
	buffer_load_dword v10, off, s[44:47], 0 offset:288 ; 4-byte Folded Reload
	buffer_load_dword v11, off, s[44:47], 0 offset:292 ; 4-byte Folded Reload
	buffer_load_dword v12, off, s[44:47], 0 offset:296 ; 4-byte Folded Reload
	buffer_load_dword v13, off, s[44:47], 0 offset:300 ; 4-byte Folded Reload
	s_waitcnt vmcnt(0) lgkmcnt(0)
	v_mul_f64 v[8:9], v[12:13], v[6:7]
	v_fmac_f64_e32 v[8:9], v[10:11], v[4:5]
	v_mul_f64 v[4:5], v[12:13], v[4:5]
	v_fma_f64 v[4:5], v[10:11], v[6:7], -v[4:5]
	v_mul_f64 v[8:9], v[8:9], s[2:3]
	v_mul_f64 v[10:11], v[4:5], s[2:3]
	global_store_dwordx4 v[0:1], v[8:11], off
	ds_read_b128 v[4:7], v242 offset:33792
	buffer_load_dword v10, off, s[44:47], 0 offset:328 ; 4-byte Folded Reload
	buffer_load_dword v11, off, s[44:47], 0 offset:332 ; 4-byte Folded Reload
	;; [unrolled: 1-line block ×4, first 2 shown]
	v_mad_u64_u32 v[0:1], s[6:7], s0, v14, v[0:1]
	v_add_u32_e32 v1, s4, v1
	s_waitcnt vmcnt(0) lgkmcnt(0)
	v_mul_f64 v[8:9], v[12:13], v[6:7]
	v_fmac_f64_e32 v[8:9], v[10:11], v[4:5]
	v_mul_f64 v[4:5], v[12:13], v[4:5]
	v_fma_f64 v[4:5], v[10:11], v[6:7], -v[4:5]
	v_mul_f64 v[8:9], v[8:9], s[2:3]
	v_mul_f64 v[10:11], v[4:5], s[2:3]
	global_store_dwordx4 v[0:1], v[8:11], off
	ds_read_b128 v[4:7], v242 offset:38400
	buffer_load_dword v10, off, s[44:47], 0 offset:364 ; 4-byte Folded Reload
	buffer_load_dword v11, off, s[44:47], 0 offset:368 ; 4-byte Folded Reload
	;; [unrolled: 1-line block ×4, first 2 shown]
	v_mad_u64_u32 v[0:1], s[6:7], s0, v14, v[0:1]
	v_add_u32_e32 v1, s4, v1
	s_waitcnt vmcnt(0) lgkmcnt(0)
	v_mul_f64 v[8:9], v[12:13], v[6:7]
	v_fmac_f64_e32 v[8:9], v[10:11], v[4:5]
	v_mul_f64 v[4:5], v[12:13], v[4:5]
	v_fma_f64 v[4:5], v[10:11], v[6:7], -v[4:5]
	v_mul_f64 v[8:9], v[8:9], s[2:3]
	v_mul_f64 v[10:11], v[4:5], s[2:3]
	global_store_dwordx4 v[0:1], v[8:11], off
	ds_read_b128 v[4:7], v242 offset:43008
	buffer_load_dword v10, off, s[44:47], 0 offset:404 ; 4-byte Folded Reload
	buffer_load_dword v11, off, s[44:47], 0 offset:408 ; 4-byte Folded Reload
	;; [unrolled: 1-line block ×4, first 2 shown]
	s_waitcnt vmcnt(0) lgkmcnt(0)
	v_mul_f64 v[8:9], v[12:13], v[6:7]
	v_fmac_f64_e32 v[8:9], v[10:11], v[4:5]
	v_mul_f64 v[4:5], v[12:13], v[4:5]
	v_fma_f64 v[4:5], v[10:11], v[6:7], -v[4:5]
	buffer_load_dword v7, off, s[44:47], 0 offset:4 ; 4-byte Folded Reload
	v_mul_f64 v[10:11], v[4:5], s[2:3]
	v_mul_f64 v[8:9], v[8:9], s[2:3]
	s_waitcnt vmcnt(0)
	v_mad_u64_u32 v[4:5], s[6:7], s0, v7, 0
	v_mov_b32_e32 v6, v5
	v_mad_u64_u32 v[6:7], s[6:7], s1, v7, v[6:7]
	v_mov_b32_e32 v5, v6
	v_lshlrev_b64 v[4:5], 4, v[4:5]
	v_add_co_u32_e32 v4, vcc, v2, v4
	v_addc_co_u32_e32 v5, vcc, v3, v5, vcc
	global_store_dwordx4 v[4:5], v[8:11], off
	ds_read_b128 v[4:7], v242 offset:3072
	buffer_load_dword v10, off, s[44:47], 0 offset:176 ; 4-byte Folded Reload
	buffer_load_dword v11, off, s[44:47], 0 offset:180 ; 4-byte Folded Reload
	;; [unrolled: 1-line block ×4, first 2 shown]
	s_waitcnt vmcnt(0) lgkmcnt(0)
	v_mul_f64 v[8:9], v[12:13], v[6:7]
	v_fmac_f64_e32 v[8:9], v[10:11], v[4:5]
	v_mul_f64 v[4:5], v[12:13], v[4:5]
	v_fma_f64 v[4:5], v[10:11], v[6:7], -v[4:5]
	v_mul_f64 v[10:11], v[4:5], s[2:3]
	v_mov_b32_e32 v4, 0xffff7600
	v_mad_u64_u32 v[0:1], s[6:7], s0, v4, v[0:1]
	s_mul_i32 s6, s1, 0xffff7600
	s_sub_i32 s6, s6, s0
	v_mul_f64 v[8:9], v[8:9], s[2:3]
	v_add_u32_e32 v1, s6, v1
	global_store_dwordx4 v[0:1], v[8:11], off
	ds_read_b128 v[4:7], v242 offset:7680
	buffer_load_dword v10, off, s[44:47], 0 offset:272 ; 4-byte Folded Reload
	buffer_load_dword v11, off, s[44:47], 0 offset:276 ; 4-byte Folded Reload
	;; [unrolled: 1-line block ×4, first 2 shown]
	v_mad_u64_u32 v[0:1], s[6:7], s0, v14, v[0:1]
	v_add_u32_e32 v1, s4, v1
	s_waitcnt vmcnt(0) lgkmcnt(0)
	v_mul_f64 v[8:9], v[12:13], v[6:7]
	v_fmac_f64_e32 v[8:9], v[10:11], v[4:5]
	v_mul_f64 v[4:5], v[12:13], v[4:5]
	v_fma_f64 v[4:5], v[10:11], v[6:7], -v[4:5]
	v_mul_f64 v[8:9], v[8:9], s[2:3]
	v_mul_f64 v[10:11], v[4:5], s[2:3]
	global_store_dwordx4 v[0:1], v[8:11], off
	ds_read_b128 v[4:7], v242 offset:12288
	buffer_load_dword v10, off, s[44:47], 0 offset:128 ; 4-byte Folded Reload
	buffer_load_dword v11, off, s[44:47], 0 offset:132 ; 4-byte Folded Reload
	;; [unrolled: 1-line block ×4, first 2 shown]
	v_mad_u64_u32 v[0:1], s[6:7], s0, v15, v[0:1]
	v_add_u32_e32 v1, s5, v1
	s_waitcnt vmcnt(0) lgkmcnt(0)
	v_mul_f64 v[8:9], v[12:13], v[6:7]
	v_fmac_f64_e32 v[8:9], v[10:11], v[4:5]
	v_mul_f64 v[4:5], v[12:13], v[4:5]
	v_fma_f64 v[4:5], v[10:11], v[6:7], -v[4:5]
	buffer_load_dword v7, off, s[44:47], 0 offset:216 ; 4-byte Folded Reload
	v_mul_f64 v[10:11], v[4:5], s[2:3]
	v_mul_f64 v[8:9], v[8:9], s[2:3]
	s_waitcnt vmcnt(0)
	v_mad_u64_u32 v[4:5], s[6:7], s0, v7, 0
	v_mov_b32_e32 v6, v5
	v_mad_u64_u32 v[6:7], s[6:7], s1, v7, v[6:7]
	v_mov_b32_e32 v5, v6
	v_lshlrev_b64 v[4:5], 4, v[4:5]
	v_add_co_u32_e32 v4, vcc, v2, v4
	v_addc_co_u32_e32 v5, vcc, v3, v5, vcc
	global_store_dwordx4 v[4:5], v[8:11], off
	ds_read_b128 v[4:7], v242 offset:16896
	buffer_load_dword v10, off, s[44:47], 0 offset:112 ; 4-byte Folded Reload
	buffer_load_dword v11, off, s[44:47], 0 offset:116 ; 4-byte Folded Reload
	;; [unrolled: 1-line block ×4, first 2 shown]
	s_waitcnt vmcnt(0) lgkmcnt(0)
	v_mul_f64 v[8:9], v[12:13], v[6:7]
	v_fmac_f64_e32 v[8:9], v[10:11], v[4:5]
	v_mul_f64 v[4:5], v[12:13], v[4:5]
	v_fma_f64 v[4:5], v[10:11], v[6:7], -v[4:5]
	v_mul_f64 v[8:9], v[8:9], s[2:3]
	v_mul_f64 v[10:11], v[4:5], s[2:3]
	global_store_dwordx4 v[0:1], v[8:11], off
	ds_read_b128 v[4:7], v242 offset:21504
	buffer_load_dword v10, off, s[44:47], 0 offset:160 ; 4-byte Folded Reload
	buffer_load_dword v11, off, s[44:47], 0 offset:164 ; 4-byte Folded Reload
	buffer_load_dword v12, off, s[44:47], 0 offset:168 ; 4-byte Folded Reload
	buffer_load_dword v13, off, s[44:47], 0 offset:172 ; 4-byte Folded Reload
	v_mad_u64_u32 v[0:1], s[6:7], s0, v14, v[0:1]
	v_add_u32_e32 v1, s4, v1
	s_waitcnt vmcnt(0) lgkmcnt(0)
	v_mul_f64 v[8:9], v[12:13], v[6:7]
	v_fmac_f64_e32 v[8:9], v[10:11], v[4:5]
	v_mul_f64 v[4:5], v[12:13], v[4:5]
	v_fma_f64 v[4:5], v[10:11], v[6:7], -v[4:5]
	v_mul_f64 v[8:9], v[8:9], s[2:3]
	v_mul_f64 v[10:11], v[4:5], s[2:3]
	global_store_dwordx4 v[0:1], v[8:11], off
	ds_read_b128 v[4:7], v242 offset:26112
	buffer_load_dword v10, off, s[44:47], 0 offset:240 ; 4-byte Folded Reload
	buffer_load_dword v11, off, s[44:47], 0 offset:244 ; 4-byte Folded Reload
	;; [unrolled: 1-line block ×4, first 2 shown]
	s_waitcnt vmcnt(0) lgkmcnt(0)
	v_mul_f64 v[8:9], v[12:13], v[6:7]
	v_fmac_f64_e32 v[8:9], v[10:11], v[4:5]
	v_mul_f64 v[4:5], v[12:13], v[4:5]
	v_fma_f64 v[4:5], v[10:11], v[6:7], -v[4:5]
	v_mad_u64_u32 v[12:13], s[6:7], s0, v14, v[0:1]
	v_mul_f64 v[8:9], v[8:9], s[2:3]
	v_mul_f64 v[10:11], v[4:5], s[2:3]
	v_add_u32_e32 v13, s4, v13
	global_store_dwordx4 v[12:13], v[8:11], off
	ds_read_b128 v[4:7], v242 offset:30720
	buffer_load_dword v16, off, s[44:47], 0 offset:476 ; 4-byte Folded Reload
	buffer_load_dword v17, off, s[44:47], 0 offset:480 ; 4-byte Folded Reload
	;; [unrolled: 1-line block ×4, first 2 shown]
	s_waitcnt vmcnt(0) lgkmcnt(0)
	v_mul_f64 v[0:1], v[18:19], v[6:7]
	v_fmac_f64_e32 v[0:1], v[16:17], v[4:5]
	v_mul_f64 v[8:9], v[0:1], s[2:3]
	v_mul_f64 v[0:1], v[18:19], v[4:5]
	buffer_load_dword v5, off, s[44:47], 0 offset:8 ; 4-byte Folded Reload
	v_fma_f64 v[0:1], v[16:17], v[6:7], -v[0:1]
	v_mul_f64 v[10:11], v[0:1], s[2:3]
	s_waitcnt vmcnt(0)
	v_mad_u64_u32 v[0:1], s[6:7], s0, v5, 0
	v_mov_b32_e32 v4, v1
	v_mad_u64_u32 v[4:5], s[6:7], s1, v5, v[4:5]
	v_mov_b32_e32 v1, v4
	v_lshlrev_b64 v[0:1], 4, v[0:1]
	v_add_co_u32_e32 v0, vcc, v2, v0
	v_addc_co_u32_e32 v1, vcc, v3, v1, vcc
	global_store_dwordx4 v[0:1], v[8:11], off
	ds_read_b128 v[0:3], v242 offset:35328
	buffer_load_dword v6, off, s[44:47], 0 offset:516 ; 4-byte Folded Reload
	buffer_load_dword v7, off, s[44:47], 0 offset:520 ; 4-byte Folded Reload
	;; [unrolled: 1-line block ×4, first 2 shown]
	s_waitcnt vmcnt(0) lgkmcnt(0)
	v_mul_f64 v[4:5], v[8:9], v[2:3]
	v_fmac_f64_e32 v[4:5], v[6:7], v[0:1]
	v_mul_f64 v[0:1], v[8:9], v[0:1]
	v_fma_f64 v[0:1], v[6:7], v[2:3], -v[0:1]
	v_mad_u64_u32 v[8:9], s[6:7], s0, v15, v[12:13]
	v_mul_f64 v[4:5], v[4:5], s[2:3]
	v_mul_f64 v[6:7], v[0:1], s[2:3]
	v_add_u32_e32 v9, s5, v9
	global_store_dwordx4 v[8:9], v[4:7], off
	ds_read_b128 v[0:3], v242 offset:39936
	buffer_load_dword v10, off, s[44:47], 0 offset:436 ; 4-byte Folded Reload
	buffer_load_dword v11, off, s[44:47], 0 offset:440 ; 4-byte Folded Reload
	;; [unrolled: 1-line block ×4, first 2 shown]
	s_waitcnt vmcnt(0) lgkmcnt(0)
	v_mul_f64 v[4:5], v[12:13], v[2:3]
	v_fmac_f64_e32 v[4:5], v[10:11], v[0:1]
	v_mul_f64 v[0:1], v[12:13], v[0:1]
	v_fma_f64 v[0:1], v[10:11], v[2:3], -v[0:1]
	v_mul_f64 v[6:7], v[0:1], s[2:3]
	v_mad_u64_u32 v[0:1], s[6:7], s0, v14, v[8:9]
	v_mul_f64 v[4:5], v[4:5], s[2:3]
	v_add_u32_e32 v1, s4, v1
	global_store_dwordx4 v[0:1], v[4:7], off
	ds_read_b128 v[2:5], v242 offset:44544
	buffer_load_dword v8, off, s[44:47], 0 offset:224 ; 4-byte Folded Reload
	buffer_load_dword v9, off, s[44:47], 0 offset:228 ; 4-byte Folded Reload
	;; [unrolled: 1-line block ×4, first 2 shown]
	v_mad_u64_u32 v[0:1], s[0:1], s0, v14, v[0:1]
	v_add_u32_e32 v1, s4, v1
	s_waitcnt vmcnt(0) lgkmcnt(0)
	v_mul_f64 v[6:7], v[10:11], v[4:5]
	v_fmac_f64_e32 v[6:7], v[8:9], v[2:3]
	v_mul_f64 v[2:3], v[10:11], v[2:3]
	v_fma_f64 v[2:3], v[8:9], v[4:5], -v[2:3]
	v_mul_f64 v[6:7], v[6:7], s[2:3]
	v_mul_f64 v[8:9], v[2:3], s[2:3]
	global_store_dwordx4 v[0:1], v[6:9], off
.LBB0_2:
	s_endpgm
	.section	.rodata,"a",@progbits
	.p2align	6, 0x0
	.amdhsa_kernel bluestein_single_back_len2880_dim1_dp_op_CI_CI
		.amdhsa_group_segment_fixed_size 46080
		.amdhsa_private_segment_fixed_size 728
		.amdhsa_kernarg_size 104
		.amdhsa_user_sgpr_count 6
		.amdhsa_user_sgpr_private_segment_buffer 1
		.amdhsa_user_sgpr_dispatch_ptr 0
		.amdhsa_user_sgpr_queue_ptr 0
		.amdhsa_user_sgpr_kernarg_segment_ptr 1
		.amdhsa_user_sgpr_dispatch_id 0
		.amdhsa_user_sgpr_flat_scratch_init 0
		.amdhsa_user_sgpr_kernarg_preload_length 0
		.amdhsa_user_sgpr_kernarg_preload_offset 0
		.amdhsa_user_sgpr_private_segment_size 0
		.amdhsa_uses_dynamic_stack 0
		.amdhsa_system_sgpr_private_segment_wavefront_offset 1
		.amdhsa_system_sgpr_workgroup_id_x 1
		.amdhsa_system_sgpr_workgroup_id_y 0
		.amdhsa_system_sgpr_workgroup_id_z 0
		.amdhsa_system_sgpr_workgroup_info 0
		.amdhsa_system_vgpr_workitem_id 0
		.amdhsa_next_free_vgpr 512
		.amdhsa_next_free_sgpr 48
		.amdhsa_accum_offset 256
		.amdhsa_reserve_vcc 1
		.amdhsa_reserve_flat_scratch 0
		.amdhsa_float_round_mode_32 0
		.amdhsa_float_round_mode_16_64 0
		.amdhsa_float_denorm_mode_32 3
		.amdhsa_float_denorm_mode_16_64 3
		.amdhsa_dx10_clamp 1
		.amdhsa_ieee_mode 1
		.amdhsa_fp16_overflow 0
		.amdhsa_tg_split 0
		.amdhsa_exception_fp_ieee_invalid_op 0
		.amdhsa_exception_fp_denorm_src 0
		.amdhsa_exception_fp_ieee_div_zero 0
		.amdhsa_exception_fp_ieee_overflow 0
		.amdhsa_exception_fp_ieee_underflow 0
		.amdhsa_exception_fp_ieee_inexact 0
		.amdhsa_exception_int_div_zero 0
	.end_amdhsa_kernel
	.text
.Lfunc_end0:
	.size	bluestein_single_back_len2880_dim1_dp_op_CI_CI, .Lfunc_end0-bluestein_single_back_len2880_dim1_dp_op_CI_CI
                                        ; -- End function
	.section	.AMDGPU.csdata,"",@progbits
; Kernel info:
; codeLenInByte = 44104
; NumSgprs: 52
; NumVgprs: 256
; NumAgprs: 256
; TotalNumVgprs: 512
; ScratchSize: 728
; MemoryBound: 0
; FloatMode: 240
; IeeeMode: 1
; LDSByteSize: 46080 bytes/workgroup (compile time only)
; SGPRBlocks: 6
; VGPRBlocks: 63
; NumSGPRsForWavesPerEU: 52
; NumVGPRsForWavesPerEU: 512
; AccumOffset: 256
; Occupancy: 1
; WaveLimiterHint : 1
; COMPUTE_PGM_RSRC2:SCRATCH_EN: 1
; COMPUTE_PGM_RSRC2:USER_SGPR: 6
; COMPUTE_PGM_RSRC2:TRAP_HANDLER: 0
; COMPUTE_PGM_RSRC2:TGID_X_EN: 1
; COMPUTE_PGM_RSRC2:TGID_Y_EN: 0
; COMPUTE_PGM_RSRC2:TGID_Z_EN: 0
; COMPUTE_PGM_RSRC2:TIDIG_COMP_CNT: 0
; COMPUTE_PGM_RSRC3_GFX90A:ACCUM_OFFSET: 63
; COMPUTE_PGM_RSRC3_GFX90A:TG_SPLIT: 0
	.text
	.p2alignl 6, 3212836864
	.fill 256, 4, 3212836864
	.type	__hip_cuid_b1ec6fdf21dd737b,@object ; @__hip_cuid_b1ec6fdf21dd737b
	.section	.bss,"aw",@nobits
	.globl	__hip_cuid_b1ec6fdf21dd737b
__hip_cuid_b1ec6fdf21dd737b:
	.byte	0                               ; 0x0
	.size	__hip_cuid_b1ec6fdf21dd737b, 1

	.ident	"AMD clang version 19.0.0git (https://github.com/RadeonOpenCompute/llvm-project roc-6.4.0 25133 c7fe45cf4b819c5991fe208aaa96edf142730f1d)"
	.section	".note.GNU-stack","",@progbits
	.addrsig
	.addrsig_sym __hip_cuid_b1ec6fdf21dd737b
	.amdgpu_metadata
---
amdhsa.kernels:
  - .agpr_count:     256
    .args:
      - .actual_access:  read_only
        .address_space:  global
        .offset:         0
        .size:           8
        .value_kind:     global_buffer
      - .actual_access:  read_only
        .address_space:  global
        .offset:         8
        .size:           8
        .value_kind:     global_buffer
      - .actual_access:  read_only
        .address_space:  global
        .offset:         16
        .size:           8
        .value_kind:     global_buffer
      - .actual_access:  read_only
        .address_space:  global
        .offset:         24
        .size:           8
        .value_kind:     global_buffer
      - .actual_access:  read_only
        .address_space:  global
        .offset:         32
        .size:           8
        .value_kind:     global_buffer
      - .offset:         40
        .size:           8
        .value_kind:     by_value
      - .address_space:  global
        .offset:         48
        .size:           8
        .value_kind:     global_buffer
      - .address_space:  global
        .offset:         56
        .size:           8
        .value_kind:     global_buffer
      - .address_space:  global
        .offset:         64
        .size:           8
        .value_kind:     global_buffer
      - .address_space:  global
        .offset:         72
        .size:           8
        .value_kind:     global_buffer
      - .offset:         80
        .size:           4
        .value_kind:     by_value
      - .address_space:  global
        .offset:         88
        .size:           8
        .value_kind:     global_buffer
      - .address_space:  global
        .offset:         96
        .size:           8
        .value_kind:     global_buffer
    .group_segment_fixed_size: 46080
    .kernarg_segment_align: 8
    .kernarg_segment_size: 104
    .language:       OpenCL C
    .language_version:
      - 2
      - 0
    .max_flat_workgroup_size: 96
    .name:           bluestein_single_back_len2880_dim1_dp_op_CI_CI
    .private_segment_fixed_size: 728
    .sgpr_count:     52
    .sgpr_spill_count: 0
    .symbol:         bluestein_single_back_len2880_dim1_dp_op_CI_CI.kd
    .uniform_work_group_size: 1
    .uses_dynamic_stack: false
    .vgpr_count:     512
    .vgpr_spill_count: 181
    .wavefront_size: 64
amdhsa.target:   amdgcn-amd-amdhsa--gfx90a
amdhsa.version:
  - 1
  - 2
...

	.end_amdgpu_metadata
